;; amdgpu-corpus repo=ROCm/rocFFT kind=compiled arch=gfx1201 opt=O3
	.text
	.amdgcn_target "amdgcn-amd-amdhsa--gfx1201"
	.amdhsa_code_object_version 6
	.protected	bluestein_single_back_len1764_dim1_half_op_CI_CI ; -- Begin function bluestein_single_back_len1764_dim1_half_op_CI_CI
	.globl	bluestein_single_back_len1764_dim1_half_op_CI_CI
	.p2align	8
	.type	bluestein_single_back_len1764_dim1_half_op_CI_CI,@function
bluestein_single_back_len1764_dim1_half_op_CI_CI: ; @bluestein_single_back_len1764_dim1_half_op_CI_CI
; %bb.0:
	s_load_b128 s[12:15], s[0:1], 0x28
	v_mul_u32_u24_e32 v1, 0x209, v0
	s_mov_b32 s2, exec_lo
	v_mov_b32_e32 v17, 0
	s_delay_alu instid0(VALU_DEP_2) | instskip(NEXT) | instid1(VALU_DEP_1)
	v_lshrrev_b32_e32 v1, 16, v1
	v_add_nc_u32_e32 v16, ttmp9, v1
	s_wait_kmcnt 0x0
	s_delay_alu instid0(VALU_DEP_1)
	v_cmpx_gt_u64_e64 s[12:13], v[16:17]
	s_cbranch_execz .LBB0_18
; %bb.1:
	s_clause 0x1
	s_load_b128 s[4:7], s[0:1], 0x18
	s_load_b128 s[8:11], s[0:1], 0x0
	v_mul_lo_u16 v1, 0x7e, v1
	s_movk_i32 s2, 0xf430
	s_mov_b32 s3, -1
	s_delay_alu instid0(VALU_DEP_1) | instskip(NEXT) | instid1(VALU_DEP_1)
	v_sub_nc_u16 v17, v0, v1
	v_and_b32_e32 v69, 0xffff, v17
	s_delay_alu instid0(VALU_DEP_1)
	v_lshlrev_b32_e32 v75, 2, v69
	v_lshlrev_b32_e32 v29, 1, v69
	v_and_b32_e32 v38, 1, v69
	s_wait_kmcnt 0x0
	s_load_b128 s[16:19], s[4:5], 0x0
	s_clause 0xc
	global_load_b32 v73, v75, s[8:9]
	global_load_b32 v71, v75, s[8:9] offset:504
	global_load_b32 v66, v75, s[8:9] offset:1008
	;; [unrolled: 1-line block ×12, first 2 shown]
	v_add_nc_u32_e32 v33, 0x200, v75
	v_add_nc_u32_e32 v37, 0xa00, v75
	;; [unrolled: 1-line block ×3, first 2 shown]
	v_lshlrev_b32_e32 v40, 3, v69
	v_lshlrev_b32_e32 v31, 2, v38
	v_add_nc_u32_e32 v30, 0xe00, v75
	v_add_nc_u32_e32 v34, 0x1200, v75
	;; [unrolled: 1-line block ×3, first 2 shown]
	s_wait_kmcnt 0x0
	v_mad_co_u64_u32 v[0:1], null, s18, v16, 0
	v_mad_co_u64_u32 v[2:3], null, s16, v69, 0
	s_mul_u64 s[4:5], s[16:17], 0xdc8
	s_mul_u64 s[2:3], s[16:17], s[2:3]
	s_delay_alu instid0(VALU_DEP_1) | instskip(NEXT) | instid1(VALU_DEP_2)
	v_mad_co_u64_u32 v[4:5], null, s19, v16, v[1:2]
	v_mov_b32_e32 v1, v3
	s_delay_alu instid0(VALU_DEP_1) | instskip(NEXT) | instid1(VALU_DEP_3)
	v_mad_co_u64_u32 v[5:6], null, s17, v69, v[1:2]
	v_mov_b32_e32 v1, v4
	s_delay_alu instid0(VALU_DEP_1) | instskip(NEXT) | instid1(VALU_DEP_3)
	v_lshlrev_b64_e32 v[0:1], 2, v[0:1]
	v_mov_b32_e32 v3, v5
	s_delay_alu instid0(VALU_DEP_1) | instskip(NEXT) | instid1(VALU_DEP_3)
	v_lshlrev_b64_e32 v[2:3], 2, v[2:3]
	v_add_co_u32 v0, vcc_lo, s14, v0
	s_delay_alu instid0(VALU_DEP_4) | instskip(NEXT) | instid1(VALU_DEP_2)
	v_add_co_ci_u32_e32 v1, vcc_lo, s15, v1, vcc_lo
	v_add_co_u32 v0, vcc_lo, v0, v2
	s_wait_alu 0xfffd
	s_delay_alu instid0(VALU_DEP_2) | instskip(NEXT) | instid1(VALU_DEP_2)
	v_add_co_ci_u32_e32 v1, vcc_lo, v1, v3, vcc_lo
	v_add_co_u32 v2, vcc_lo, v0, s4
	s_wait_alu 0xfffd
	s_delay_alu instid0(VALU_DEP_2)
	v_add_co_ci_u32_e32 v3, vcc_lo, s5, v1, vcc_lo
	global_load_b32 v4, v[0:1], off
	v_add_co_u32 v0, vcc_lo, v2, s2
	s_wait_alu 0xfffd
	v_add_co_ci_u32_e32 v1, vcc_lo, s3, v3, vcc_lo
	global_load_b32 v5, v[2:3], off
	global_load_b32 v49, v75, s[8:9] offset:6552
	global_load_b32 v6, v[0:1], off
	v_add_co_u32 v0, vcc_lo, v0, s4
	s_wait_alu 0xfffd
	v_add_co_ci_u32_e32 v1, vcc_lo, s5, v1, vcc_lo
	s_delay_alu instid0(VALU_DEP_2) | instskip(SKIP_1) | instid1(VALU_DEP_2)
	v_add_co_u32 v2, vcc_lo, v0, s2
	s_wait_alu 0xfffd
	v_add_co_ci_u32_e32 v3, vcc_lo, s3, v1, vcc_lo
	s_clause 0x1
	global_load_b32 v7, v[0:1], off
	global_load_b32 v8, v[2:3], off
	v_add_co_u32 v0, vcc_lo, v2, s4
	s_wait_alu 0xfffd
	v_add_co_ci_u32_e32 v1, vcc_lo, s5, v3, vcc_lo
	s_delay_alu instid0(VALU_DEP_2) | instskip(SKIP_1) | instid1(VALU_DEP_2)
	v_add_co_u32 v2, vcc_lo, v0, s2
	s_wait_alu 0xfffd
	v_add_co_ci_u32_e32 v3, vcc_lo, s3, v1, vcc_lo
	global_load_b32 v9, v[0:1], off
	v_add_co_u32 v0, vcc_lo, v2, s4
	s_wait_alu 0xfffd
	v_add_co_ci_u32_e32 v1, vcc_lo, s5, v3, vcc_lo
	global_load_b32 v10, v[2:3], off
	global_load_b32 v11, v[0:1], off
	v_add_co_u32 v0, vcc_lo, v0, s2
	s_wait_alu 0xfffd
	v_add_co_ci_u32_e32 v1, vcc_lo, s3, v1, vcc_lo
	s_delay_alu instid0(VALU_DEP_2) | instskip(SKIP_1) | instid1(VALU_DEP_2)
	v_add_co_u32 v2, vcc_lo, v0, s4
	s_wait_alu 0xfffd
	v_add_co_ci_u32_e32 v3, vcc_lo, s5, v1, vcc_lo
	global_load_b32 v15, v[0:1], off
	v_add_co_u32 v0, vcc_lo, v2, s2
	s_wait_alu 0xfffd
	v_add_co_ci_u32_e32 v1, vcc_lo, s3, v3, vcc_lo
	global_load_b32 v18, v[2:3], off
	;; [unrolled: 4-line block ×5, first 2 shown]
	global_load_b32 v1, v[2:3], off
	v_add_co_u32 v12, s2, 0x7e, v69
	s_wait_alu 0xf1ff
	v_add_co_ci_u32_e64 v2, null, 0, 0, s2
	v_add_co_u32 v13, s2, 0xfc, v69
	s_wait_alu 0xf1ff
	v_add_co_ci_u32_e64 v2, null, 0, 0, s2
	;; [unrolled: 3-line block ×3, first 2 shown]
	s_load_b128 s[4:7], s[6:7], 0x0
	v_lshlrev_b32_e32 v82, 3, v12
	v_lshlrev_b32_e32 v81, 3, v13
	;; [unrolled: 1-line block ×3, first 2 shown]
	s_load_b64 s[2:3], s[0:1], 0x38
	v_cmp_gt_u16_e32 vcc_lo, 0x54, v17
                                        ; kill: def $vgpr17 killed $sgpr0 killed $exec
	s_wait_loadcnt 0x15
	v_lshrrev_b32_e32 v72, 16, v70
	v_lshrrev_b32_e32 v78, 16, v73
	;; [unrolled: 1-line block ×4, first 2 shown]
	s_wait_loadcnt 0x14
	v_lshrrev_b32_e32 v67, 16, v65
	s_wait_loadcnt 0x10
	v_lshrrev_b32_e32 v77, 16, v76
	v_lshrrev_b32_e32 v64, 16, v62
	;; [unrolled: 1-line block ×7, first 2 shown]
	s_wait_loadcnt 0xf
	v_lshrrev_b32_e32 v52, 16, v51
	s_wait_loadcnt 0xe
	v_lshrrev_b32_e32 v2, 16, v4
	v_mul_f16_e32 v3, v78, v4
	s_wait_loadcnt 0xd
	v_lshrrev_b32_e32 v22, 16, v5
	s_delay_alu instid0(VALU_DEP_3)
	v_mul_f16_e32 v21, v78, v2
	v_mul_f16_e32 v23, v77, v5
	v_fma_f16 v2, v73, v2, -v3
	s_wait_loadcnt 0xc
	v_lshrrev_b32_e32 v50, 16, v49
	v_mul_f16_e32 v3, v77, v22
	v_fmac_f16_e32 v21, v73, v4
	s_wait_loadcnt 0xb
	v_lshrrev_b32_e32 v4, 16, v6
	v_fma_f16 v22, v76, v22, -v23
	v_mul_f16_e32 v23, v74, v6
	v_fmac_f16_e32 v3, v76, v5
	v_pack_b32_f16 v2, v21, v2
	v_mul_f16_e32 v5, v74, v4
	s_wait_loadcnt 0xa
	v_lshrrev_b32_e32 v21, 16, v7
	v_fma_f16 v4, v71, v4, -v23
	v_pack_b32_f16 v3, v3, v22
	v_mul_f16_e32 v24, v72, v7
	v_fmac_f16_e32 v5, v71, v6
	v_mul_f16_e32 v6, v72, v21
	s_wait_loadcnt 0x9
	v_lshrrev_b32_e32 v22, 16, v8
	v_mul_f16_e32 v23, v68, v8
	ds_store_b32 v75, v3 offset:3528
	v_pack_b32_f16 v3, v5, v4
	v_fmac_f16_e32 v6, v70, v7
	s_wait_loadcnt 0x8
	v_lshrrev_b32_e32 v7, 16, v9
	v_fma_f16 v21, v70, v21, -v24
	v_mul_f16_e32 v4, v68, v22
	v_fma_f16 v5, v66, v22, -v23
	v_mul_f16_e32 v22, v67, v9
	ds_store_2addr_b32 v75, v2, v3 offset1:126
	v_mul_f16_e32 v3, v67, v7
	v_pack_b32_f16 v2, v6, v21
	v_fmac_f16_e32 v4, v66, v8
	s_wait_loadcnt 0x7
	v_lshrrev_b32_e32 v6, 16, v10
	v_fma_f16 v7, v65, v7, -v22
	v_mul_f16_e32 v8, v64, v10
	v_fmac_f16_e32 v3, v65, v9
	s_wait_loadcnt 0x6
	v_lshrrev_b32_e32 v9, 16, v11
	v_mul_f16_e32 v21, v63, v11
	v_pack_b32_f16 v4, v4, v5
	v_mul_f16_e32 v5, v64, v6
	v_fma_f16 v6, v62, v6, -v8
	v_pack_b32_f16 v3, v3, v7
	v_mul_f16_e32 v7, v63, v9
	v_fma_f16 v8, v61, v9, -v21
	s_wait_loadcnt 0x5
	v_lshrrev_b32_e32 v9, 16, v15
	v_fmac_f16_e32 v5, v62, v10
	v_mul_f16_e32 v10, v60, v15
	ds_store_2addr_b32 v30, v2, v3 offset0:112 offset1:238
	v_fmac_f16_e32 v7, v61, v11
	v_mul_f16_e32 v3, v60, v9
	v_pack_b32_f16 v2, v5, v6
	v_fma_f16 v5, v58, v9, -v10
	s_wait_loadcnt 0x4
	v_lshrrev_b32_e32 v6, 16, v18
	v_mul_f16_e32 v9, v59, v18
	v_pack_b32_f16 v7, v7, v8
	v_fmac_f16_e32 v3, v58, v15
	s_wait_loadcnt 0x3
	v_lshrrev_b32_e32 v8, 16, v19
	v_mul_f16_e32 v10, v59, v6
	v_fma_f16 v6, v57, v6, -v9
	v_mul_f16_e32 v9, v56, v19
	v_pack_b32_f16 v3, v3, v5
	v_mul_f16_e32 v5, v56, v8
	s_wait_loadcnt 0x2
	v_lshrrev_b32_e32 v11, 16, v20
	s_wait_loadcnt 0x1
	v_lshrrev_b32_e32 v15, 16, v0
	v_fma_f16 v8, v55, v8, -v9
	v_mul_f16_e32 v9, v54, v20
	v_fmac_f16_e32 v5, v55, v19
	s_wait_loadcnt 0x0
	v_lshrrev_b32_e32 v19, 16, v1
	v_fmac_f16_e32 v10, v57, v18
	v_mul_f16_e32 v18, v54, v11
	v_fma_f16 v9, v53, v11, -v9
	v_mul_f16_e32 v11, v52, v0
	v_mul_f16_e32 v21, v52, v15
	;; [unrolled: 1-line block ×4, first 2 shown]
	v_fmac_f16_e32 v18, v53, v20
	v_fma_f16 v11, v51, v15, -v11
	v_fmac_f16_e32 v21, v51, v0
	v_fma_f16 v0, v49, v19, -v22
	v_fmac_f16_e32 v23, v49, v1
	v_pack_b32_f16 v1, v10, v6
	v_pack_b32_f16 v5, v5, v8
	;; [unrolled: 1-line block ×5, first 2 shown]
	ds_store_2addr_b32 v33, v4, v2 offset0:124 offset1:250
	ds_store_2addr_b32 v34, v7, v1 offset0:108 offset1:234
	;; [unrolled: 1-line block ×3, first 2 shown]
	ds_store_b32 v75, v8 offset:3024
	ds_store_2addr_b32 v36, v6, v0 offset0:104 offset1:230
	global_wb scope:SCOPE_SE
	s_wait_dscnt 0x0
	s_wait_kmcnt 0x0
	s_barrier_signal -1
	s_barrier_wait -1
	global_inv scope:SCOPE_SE
	ds_load_2addr_b32 v[0:1], v75 offset1:126
	ds_load_2addr_b32 v[2:3], v37 offset0:116 offset1:242
	ds_load_2addr_b32 v[4:5], v30 offset0:112 offset1:238
	;; [unrolled: 1-line block ×6, first 2 shown]
	v_lshlrev_b32_e32 v20, 2, v29
	v_add_co_u32 v15, null, 0x1f8, v69
	global_wb scope:SCOPE_SE
	s_wait_dscnt 0x0
	s_barrier_signal -1
	v_add_nc_u32_e32 v32, 0x1000, v20
	v_lshlrev_b32_e32 v48, 3, v15
	s_barrier_wait -1
	global_inv scope:SCOPE_SE
	v_pk_add_f16 v20, v0, v3 neg_lo:[0,1] neg_hi:[0,1]
	v_pk_add_f16 v4, v1, v4 neg_lo:[0,1] neg_hi:[0,1]
	;; [unrolled: 1-line block ×7, first 2 shown]
	v_pk_fma_f16 v19, v0, 2.0, v20 op_sel_hi:[1,0,1] neg_lo:[0,0,1] neg_hi:[0,0,1]
	v_pk_fma_f16 v3, v1, 2.0, v4 op_sel_hi:[1,0,1] neg_lo:[0,0,1] neg_hi:[0,0,1]
	;; [unrolled: 1-line block ×7, first 2 shown]
	ds_store_b64 v40, v[19:20]
	ds_store_b64 v82, v[3:4]
	;; [unrolled: 1-line block ×5, first 2 shown]
	ds_store_2addr_b64 v32, v[25:26], v[27:28] offset0:118 offset1:244
	global_wb scope:SCOPE_SE
	s_wait_dscnt 0x0
	s_barrier_signal -1
	s_barrier_wait -1
	global_inv scope:SCOPE_SE
	global_load_b32 v39, v31, s[10:11]
	v_lshlrev_b32_e32 v0, 1, v12
	v_lshlrev_b32_e32 v1, 1, v13
	;; [unrolled: 1-line block ×3, first 2 shown]
	v_and_or_b32 v3, 0xfc, v29, v38
	v_lshlrev_b32_e32 v4, 1, v15
	v_and_or_b32 v18, 0x1fc, v0, v38
	v_and_or_b32 v19, 0x3fc, v1, v38
	;; [unrolled: 1-line block ×3, first 2 shown]
	v_lshlrev_b32_e32 v41, 2, v3
	ds_load_2addr_b32 v[0:1], v75 offset1:126
	ds_load_2addr_b32 v[2:3], v37 offset0:116 offset1:242
	v_and_or_b32 v23, 0x7fc, v4, v38
	ds_load_2addr_b32 v[4:5], v30 offset0:112 offset1:238
	ds_load_2addr_b32 v[6:7], v33 offset0:124 offset1:250
	ds_load_2addr_b32 v[8:9], v34 offset0:108 offset1:234
	ds_load_2addr_b32 v[10:11], v35 offset0:120 offset1:246
	v_lshlrev_b32_e32 v42, 2, v18
	v_lshlrev_b32_e32 v43, 2, v19
	ds_load_2addr_b32 v[18:19], v36 offset0:104 offset1:230
	v_add_nc_u32_e32 v32, 0x5e8, v29
	v_add_nc_u32_e32 v31, 0x4ec, v29
	v_lshlrev_b32_e32 v44, 2, v20
	v_lshlrev_b32_e32 v45, 2, v23
	v_add_nc_u32_e32 v21, 0x800, v75
	v_and_or_b32 v25, 0x7fc, v32, v38
	v_and_or_b32 v24, 0x5fc, v31, v38
	v_add_nc_u32_e32 v22, 0xc00, v75
	global_wb scope:SCOPE_SE
	s_wait_loadcnt_dscnt 0x0
	s_barrier_signal -1
	v_lshlrev_b32_e32 v47, 2, v25
	v_lshlrev_b32_e32 v46, 2, v24
	v_lshrrev_b32_e32 v23, 16, v0
	v_lshrrev_b32_e32 v20, 16, v3
	;; [unrolled: 1-line block ×14, first 2 shown]
	s_barrier_wait -1
	global_inv scope:SCOPE_SE
	v_lshrrev_b32_e32 v86, 16, v39
	s_delay_alu instid0(VALU_DEP_1)
	v_mul_f16_e32 v84, v3, v86
	v_mul_f16_e32 v94, v20, v86
	;; [unrolled: 1-line block ×14, first 2 shown]
	v_fmac_f16_e32 v84, v20, v39
	v_fma_f16 v3, v3, v39, -v94
	v_fma_f16 v4, v4, v39, -v85
	v_fmac_f16_e32 v88, v25, v39
	v_fma_f16 v5, v5, v39, -v87
	v_fmac_f16_e32 v91, v27, v39
	;; [unrolled: 2-line block ×6, first 2 shown]
	v_sub_f16_e32 v3, v0, v3
	v_sub_f16_e32 v25, v23, v84
	;; [unrolled: 1-line block ×14, first 2 shown]
	v_fma_f16 v0, v0, 2.0, -v3
	v_fma_f16 v23, v23, 2.0, -v25
	v_fma_f16 v1, v1, 2.0, -v4
	v_fma_f16 v24, v24, 2.0, -v27
	v_fma_f16 v6, v6, 2.0, -v5
	v_fma_f16 v26, v26, 2.0, -v35
	v_fma_f16 v7, v7, 2.0, -v8
	v_fma_f16 v28, v28, 2.0, -v38
	v_fma_f16 v10, v10, 2.0, -v9
	v_fma_f16 v85, v30, 2.0, -v83
	v_fma_f16 v11, v11, 2.0, -v18
	v_fma_f16 v37, v37, 2.0, -v84
	v_fma_f16 v29, v2, 2.0, -v19
	v_fma_f16 v30, v79, 2.0, -v20
	v_pack_b32_f16 v2, v3, v25
	v_pack_b32_f16 v0, v0, v23
	;; [unrolled: 1-line block ×14, first 2 shown]
	ds_store_2addr_b32 v41, v0, v2 offset1:2
	ds_store_2addr_b32 v42, v1, v3 offset1:2
	ds_store_2addr_b32 v43, v6, v4 offset1:2
	ds_store_2addr_b32 v44, v7, v5 offset1:2
	ds_store_2addr_b32 v45, v10, v8 offset1:2
	ds_store_2addr_b32 v46, v11, v9 offset1:2
	ds_store_2addr_b32 v47, v23, v18 offset1:2
	global_wb scope:SCOPE_SE
	s_wait_dscnt 0x0
	s_barrier_signal -1
	s_barrier_wait -1
	global_inv scope:SCOPE_SE
	ds_load_2addr_b32 v[0:1], v75 offset1:126
	ds_load_2addr_b32 v[10:11], v21 offset0:76 offset1:202
	ds_load_2addr_b32 v[8:9], v34 offset0:24 offset1:150
	;; [unrolled: 1-line block ×5, first 2 shown]
                                        ; implicit-def: $vgpr21
                                        ; implicit-def: $vgpr22
	s_and_saveexec_b32 s0, vcc_lo
	s_cbranch_execz .LBB0_3
; %bb.2:
	ds_load_b32 v29, v75 offset:2016
	ds_load_b32 v19, v75 offset:4368
	;; [unrolled: 1-line block ×3, first 2 shown]
	s_wait_dscnt 0x2
	v_lshrrev_b32_e32 v30, 16, v29
	s_wait_dscnt 0x1
	v_lshrrev_b32_e32 v20, 16, v19
	;; [unrolled: 2-line block ×3, first 2 shown]
.LBB0_3:
	s_wait_alu 0xfffe
	s_or_b32 exec_lo, exec_lo, s0
	v_and_b32_e32 v79, 3, v69
	v_and_b32_e32 v23, 3, v14
	v_lshrrev_b32_e32 v88, 2, v69
	v_lshrrev_b32_e32 v89, 2, v12
	;; [unrolled: 1-line block ×3, first 2 shown]
	v_lshlrev_b32_e32 v17, 3, v79
	v_lshlrev_b32_e32 v24, 3, v23
	v_lshrrev_b32_e32 v90, 2, v13
	v_mul_u32_u24_e32 v88, 12, v88
	v_mul_u32_u24_e32 v89, 12, v89
	s_clause 0x4
	global_load_b64 v[17:18], v17, s[10:11] offset:8
	global_load_b32 v84, v24, s[10:11] offset:8
	global_load_b32 v87, v24, s[10:11] offset:10
	;; [unrolled: 1-line block ×3, first 2 shown]
	global_load_u16 v91, v24, s[10:11] offset:14
	v_and_b32_e32 v24, 3, v12
	v_mul_u32_u24_e32 v92, 12, v92
	s_wait_dscnt 0x4
	v_lshrrev_b32_e32 v26, 16, v10
	s_wait_dscnt 0x3
	v_lshrrev_b32_e32 v27, 16, v8
	;; [unrolled: 2-line block ×3, first 2 shown]
	v_lshlrev_b32_e32 v25, 3, v24
	s_wait_dscnt 0x0
	v_lshrrev_b32_e32 v100, 16, v5
	v_mul_u32_u24_e32 v90, 12, v90
	v_or_b32_e32 v88, v88, v79
	v_or_b32_e32 v24, v89, v24
	global_load_u16 v93, v25, s[10:11] offset:8
	v_or_b32_e32 v23, v92, v23
	v_lshrrev_b32_e32 v33, 16, v11
	v_lshrrev_b32_e32 v34, 16, v9
	;; [unrolled: 1-line block ×4, first 2 shown]
	v_or_b32_e32 v89, v90, v79
	v_lshlrev_b32_e32 v92, 2, v88
	v_lshlrev_b32_e32 v90, 2, v24
	;; [unrolled: 1-line block ×3, first 2 shown]
	v_lshrrev_b32_e32 v38, 16, v3
	v_lshrrev_b32_e32 v35, 16, v2
	;; [unrolled: 1-line block ×5, first 2 shown]
	v_lshlrev_b32_e32 v89, 2, v89
	global_wb scope:SCOPE_SE
	s_wait_loadcnt 0x0
	s_barrier_signal -1
	s_barrier_wait -1
	global_inv scope:SCOPE_SE
	v_lshrrev_b32_e32 v95, 16, v17
	v_lshrrev_b32_e32 v94, 16, v18
	;; [unrolled: 1-line block ×4, first 2 shown]
	v_mul_f16_e32 v23, v96, v87
	v_mul_f16_e32 v24, v7, v87
	;; [unrolled: 1-line block ×8, first 2 shown]
	v_lshrrev_b32_e32 v97, 16, v87
	v_mul_f16_e32 v107, v33, v99
	v_mul_f16_e32 v108, v11, v99
	;; [unrolled: 1-line block ×8, first 2 shown]
	v_fma_f16 v7, v7, v84, -v23
	v_fmac_f16_e32 v24, v96, v84
	v_fma_f16 v5, v5, v85, -v101
	v_fmac_f16_e32 v102, v100, v85
	v_mul_f16_e32 v23, v20, v95
	v_mul_f16_e32 v96, v19, v95
	;; [unrolled: 1-line block ×4, first 2 shown]
	v_fma_f16 v10, v10, v17, -v103
	v_fmac_f16_e32 v104, v26, v17
	v_fma_f16 v8, v8, v18, -v105
	v_fmac_f16_e32 v106, v27, v18
	v_fma_f16 v11, v11, v93, -v107
	v_fmac_f16_e32 v108, v33, v93
	v_fma_f16 v9, v9, v97, -v109
	v_fmac_f16_e32 v110, v34, v97
	v_fma_f16 v6, v6, v17, -v111
	v_fmac_f16_e32 v112, v36, v17
	v_fma_f16 v4, v4, v18, -v113
	v_fmac_f16_e32 v114, v37, v18
	v_fma_f16 v19, v19, v17, -v23
	v_fmac_f16_e32 v96, v20, v17
	v_fma_f16 v20, v21, v18, -v100
	v_fmac_f16_e32 v101, v22, v18
	v_add_f16_e32 v21, v3, v7
	v_add_f16_e32 v22, v7, v5
	v_sub_f16_e32 v23, v24, v102
	v_add_f16_e32 v26, v38, v24
	v_add_f16_e32 v24, v24, v102
	;; [unrolled: 1-line block ×7, first 2 shown]
	v_sub_f16_e32 v111, v112, v114
	v_add_f16_e32 v113, v35, v112
	v_add_f16_e32 v112, v112, v114
	v_sub_f16_e32 v7, v7, v5
	v_add_f16_e32 v27, v0, v10
	v_sub_f16_e32 v36, v104, v106
	;; [unrolled: 2-line block ×3, first 2 shown]
	v_add_f16_e32 v5, v21, v5
	v_fmac_f16_e32 v3, -0.5, v22
	v_add_f16_e32 v21, v26, v102
	v_fmac_f16_e32 v38, -0.5, v24
	v_add_f16_e32 v22, v29, v19
	v_add_f16_e32 v24, v19, v20
	v_sub_f16_e32 v26, v96, v101
	v_add_f16_e32 v102, v30, v96
	v_add_f16_e32 v96, v96, v101
	v_fma_f16 v0, -0.5, v33, v0
	v_fmac_f16_e32 v25, -0.5, v37
	v_add_f16_e32 v100, v1, v11
	v_sub_f16_e32 v104, v108, v110
	v_add_f16_e32 v105, v28, v108
	v_sub_f16_e32 v11, v11, v9
	v_fmac_f16_e32 v1, -0.5, v103
	v_fmac_f16_e32 v28, -0.5, v107
	v_add_f16_e32 v108, v2, v6
	v_sub_f16_e32 v6, v6, v4
	v_fma_f16 v2, -0.5, v109, v2
	v_fmac_f16_e32 v35, -0.5, v112
	v_sub_f16_e32 v19, v19, v20
	v_add_f16_e32 v8, v27, v8
	v_add_f16_e32 v27, v34, v106
	v_fmamk_f16 v103, v23, 0x3aee, v3
	v_fmac_f16_e32 v3, 0xbaee, v23
	v_fmamk_f16 v23, v7, 0xbaee, v38
	v_fmac_f16_e32 v38, 0x3aee, v7
	v_add_f16_e32 v33, v22, v20
	v_fmac_f16_e32 v29, -0.5, v24
	v_fmac_f16_e32 v30, -0.5, v96
	v_fmamk_f16 v7, v36, 0x3aee, v0
	v_fmamk_f16 v20, v10, 0xbaee, v25
	v_fmac_f16_e32 v0, 0xbaee, v36
	v_fmac_f16_e32 v25, 0x3aee, v10
	v_add_f16_e32 v9, v100, v9
	v_add_f16_e32 v37, v105, v110
	v_pack_b32_f16 v5, v5, v21
	v_fmamk_f16 v10, v104, 0x3aee, v1
	v_fmamk_f16 v21, v11, 0xbaee, v28
	v_fmac_f16_e32 v1, 0xbaee, v104
	v_fmac_f16_e32 v28, 0x3aee, v11
	v_add_f16_e32 v4, v108, v4
	v_add_f16_e32 v100, v113, v114
	v_fmamk_f16 v11, v111, 0x3aee, v2
	v_fmamk_f16 v22, v6, 0xbaee, v35
	v_add_f16_e32 v34, v102, v101
	v_fmac_f16_e32 v2, 0xbaee, v111
	v_fmac_f16_e32 v35, 0x3aee, v6
	v_fmamk_f16 v106, v26, 0x3aee, v29
	v_fmac_f16_e32 v29, 0xbaee, v26
	v_fmamk_f16 v107, v19, 0xbaee, v30
	v_fmac_f16_e32 v30, 0x3aee, v19
	v_pack_b32_f16 v6, v8, v27
	v_pack_b32_f16 v7, v7, v20
	;; [unrolled: 1-line block ×11, first 2 shown]
	ds_store_2addr_b32 v92, v6, v7 offset1:4
	ds_store_b32 v92, v0 offset:32
	ds_store_2addr_b32 v90, v8, v10 offset1:4
	ds_store_b32 v90, v1 offset:32
	;; [unrolled: 2-line block ×4, first 2 shown]
	s_and_saveexec_b32 s0, vcc_lo
	s_cbranch_execz .LBB0_5
; %bb.4:
	v_mul_u32_u24_e32 v0, 12, v83
	v_perm_b32 v1, v34, v33, 0x5040100
	v_perm_b32 v2, v107, v106, 0x5040100
	v_perm_b32 v3, v30, v29, 0x5040100
	s_delay_alu instid0(VALU_DEP_4) | instskip(NEXT) | instid1(VALU_DEP_1)
	v_or_b32_e32 v0, v0, v79
	v_lshlrev_b32_e32 v0, 2, v0
	ds_store_2addr_b32 v0, v1, v2 offset1:4
	ds_store_b32 v0, v3 offset:32
.LBB0_5:
	s_wait_alu 0xfffe
	s_or_b32 exec_lo, exec_lo, s0
	v_add_nc_u32_e32 v2, 0x800, v75
	v_add_nc_u32_e32 v3, 0x1200, v75
	;; [unrolled: 1-line block ×5, first 2 shown]
	global_wb scope:SCOPE_SE
	s_wait_dscnt 0x0
	s_barrier_signal -1
	s_barrier_wait -1
	global_inv scope:SCOPE_SE
	ds_load_2addr_b32 v[0:1], v75 offset1:126
	ds_load_2addr_b32 v[10:11], v2 offset0:76 offset1:202
	ds_load_2addr_b32 v[8:9], v3 offset0:24 offset1:150
	;; [unrolled: 1-line block ×5, first 2 shown]
	v_add_co_u32 v37, s0, s8, v75
	s_wait_alu 0xf1ff
	v_add_co_ci_u32_e64 v38, null, s9, 0, s0
	s_and_saveexec_b32 s0, vcc_lo
	s_cbranch_execz .LBB0_7
; %bb.6:
	ds_load_b32 v33, v75 offset:2016
	ds_load_b32 v106, v75 offset:4368
	;; [unrolled: 1-line block ×3, first 2 shown]
	s_wait_dscnt 0x2
	v_lshrrev_b32_e32 v34, 16, v33
	s_wait_dscnt 0x1
	v_lshrrev_b32_e32 v107, 16, v106
	;; [unrolled: 2-line block ×3, first 2 shown]
.LBB0_7:
	s_wait_alu 0xfffe
	s_or_b32 exec_lo, exec_lo, s0
	v_and_b32_e32 v36, 0xff, v69
	v_and_b32_e32 v19, 0xffff, v13
	;; [unrolled: 1-line block ×5, first 2 shown]
	v_mul_lo_u16 v21, 0xab, v36
	v_mul_u32_u24_e32 v19, 0xaaab, v19
	v_mul_u32_u24_e32 v20, 0xaaab, v20
	v_mul_lo_u16 v22, 0xab, v35
	v_lshlrev_b32_e32 v143, 2, v31
	v_lshrrev_b16 v96, 11, v21
	v_mul_u32_u24_e32 v21, 0xaaab, v23
	v_lshrrev_b32_e32 v103, 19, v19
	v_lshrrev_b32_e32 v104, 19, v20
	v_lshrrev_b16 v102, 11, v22
	v_mul_lo_u16 v19, v96, 12
	v_lshrrev_b32_e32 v105, 19, v21
	v_mul_lo_u16 v21, v103, 12
	v_mul_lo_u16 v22, v104, 12
	;; [unrolled: 1-line block ×3, first 2 shown]
	v_sub_nc_u16 v19, v69, v19
	v_mul_lo_u16 v23, v105, 12
	v_sub_nc_u16 v108, v13, v21
	v_sub_nc_u16 v109, v14, v22
	;; [unrolled: 1-line block ×3, first 2 shown]
	v_and_b32_e32 v110, 0xff, v19
	v_sub_nc_u16 v15, v15, v23
	v_lshlrev_b16 v13, 3, v108
	v_lshlrev_b16 v14, 3, v109
	v_and_b32_e32 v111, 0xff, v20
	v_lshlrev_b32_e32 v19, 3, v110
	v_lshlrev_b16 v21, 3, v15
	v_and_b32_e32 v13, 0xffff, v13
	v_and_b32_e32 v22, 0xffff, v14
	v_lshlrev_b32_e32 v20, 3, v111
	s_clause 0x1
	global_load_b64 v[27:28], v19, s[10:11] offset:40
	global_load_b64 v[25:26], v20, s[10:11] offset:40
	v_and_b32_e32 v21, 0xffff, v21
	v_add_co_u32 v13, s0, s10, v13
	s_wait_alu 0xf1ff
	v_add_co_ci_u32_e64 v14, null, s11, 0, s0
	v_add_co_u32 v19, s0, s10, v22
	s_wait_alu 0xf1ff
	v_add_co_ci_u32_e64 v20, null, s11, 0, s0
	;; [unrolled: 3-line block ×3, first 2 shown]
	s_clause 0x2
	global_load_b64 v[23:24], v[13:14], off offset:40
	global_load_b64 v[21:22], v[19:20], off offset:40
	;; [unrolled: 1-line block ×3, first 2 shown]
	v_and_b32_e32 v100, 0xffff, v102
	v_and_b32_e32 v96, 0xffff, v96
	v_mad_u16 v102, v104, 36, v109
	s_wait_dscnt 0x4
	v_lshrrev_b32_e32 v14, 16, v10
	s_wait_dscnt 0x3
	v_lshrrev_b32_e32 v31, 16, v8
	v_mul_u32_u24_e32 v100, 36, v100
	v_lshrrev_b32_e32 v116, 16, v11
	v_lshrrev_b32_e32 v117, 16, v9
	v_mad_u16 v101, v103, 36, v108
	v_mul_u32_u24_e32 v103, 36, v96
	v_and_b32_e32 v104, 0xffff, v102
	v_add_lshl_u32 v102, v100, v111, 2
	s_wait_dscnt 0x1
	v_lshrrev_b32_e32 v119, 16, v6
	s_wait_dscnt 0x0
	v_lshrrev_b32_e32 v120, 16, v4
	v_lshrrev_b32_e32 v122, 16, v7
	;; [unrolled: 1-line block ×3, first 2 shown]
	v_mad_u16 v96, v105, 36, v15
	v_add_lshl_u32 v105, v103, v110, 2
	v_lshlrev_b32_e32 v100, 2, v104
	v_lshlrev_b32_e32 v142, 2, v32
	v_lshrrev_b32_e32 v13, 16, v0
	v_lshrrev_b32_e32 v32, 16, v1
	;; [unrolled: 1-line block ×4, first 2 shown]
	v_and_b32_e32 v101, 0xffff, v101
	global_wb scope:SCOPE_SE
	s_wait_loadcnt 0x0
	s_barrier_signal -1
	s_barrier_wait -1
	global_inv scope:SCOPE_SE
	v_lshlrev_b32_e32 v101, 2, v101
	v_lshrrev_b32_e32 v115, 16, v27
	v_lshrrev_b32_e32 v114, 16, v28
	;; [unrolled: 1-line block ×4, first 2 shown]
	s_delay_alu instid0(VALU_DEP_4)
	v_mul_f16_e32 v15, v14, v115
	v_mul_f16_e32 v124, v10, v115
	;; [unrolled: 1-line block ×5, first 2 shown]
	v_mul_f16_e64 v128, v11, v113
	v_mul_f16_e64 v129, v117, v111
	;; [unrolled: 1-line block ×3, first 2 shown]
	v_fma_f16 v10, v10, v27, -v15
	v_lshrrev_b32_e32 v112, 16, v23
	v_lshrrev_b32_e32 v110, 16, v24
	;; [unrolled: 1-line block ×6, first 2 shown]
	v_fmac_f16_e32 v124, v14, v27
	v_fma_f16 v14, v8, v28, -v125
	v_fmac_f16_e32 v126, v31, v28
	v_fma_f16 v11, v11, v25, -v127
	v_fmac_f16_e64 v128, v116, v25
	v_fma_f16 v15, v9, v26, -v129
	v_fmac_f16_e64 v130, v117, v26
	v_mul_f16_e32 v31, v119, v112
	v_mul_f16_e32 v116, v6, v112
	v_mul_f16_e32 v117, v120, v110
	v_mul_f16_e32 v125, v4, v110
	v_mul_f16_e32 v127, v122, v109
	v_mul_f16_e64 v129, v7, v109
	v_mul_f16_e64 v131, v123, v108
	;; [unrolled: 1-line block ×3, first 2 shown]
	v_mul_f16_e32 v9, v106, v104
	v_mul_f16_e64 v134, v30, v103
	v_mul_f16_e32 v8, v29, v103
	v_mul_f16_e64 v132, v5, v108
	v_fma_f16 v6, v6, v23, -v31
	v_fmac_f16_e32 v116, v119, v23
	v_fma_f16 v31, v4, v24, -v117
	v_fmac_f16_e32 v125, v120, v24
	v_fma_f16 v7, v7, v21, -v127
	v_fmac_f16_e64 v129, v122, v21
	v_fma_f16 v117, v5, v22, -v131
	v_fma_f16 v5, v106, v19, -v133
	v_fmac_f16_e32 v9, v107, v19
	v_fma_f16 v4, v29, v20, -v134
	v_fmac_f16_e32 v8, v30, v20
	v_add_f16_e32 v29, v0, v10
	v_add_f16_e32 v30, v10, v14
	v_sub_f16_e32 v106, v124, v126
	v_add_f16_e32 v107, v13, v124
	v_add_f16_e32 v119, v124, v126
	;; [unrolled: 1-line block ×4, first 2 shown]
	v_add_f16_e64 v124, v32, v128
	v_add_f16_e64 v127, v128, v130
	v_fmac_f16_e64 v132, v123, v22
	v_sub_f16_e32 v10, v10, v14
	v_sub_f16_e64 v123, v128, v130
	v_sub_f16_e32 v11, v11, v15
	v_add_f16_e32 v14, v29, v14
	v_fma_f16 v29, -0.5, v30, v0
	v_add_f16_e32 v30, v107, v126
	v_fmac_f16_e32 v13, -0.5, v119
	v_add_f16_e32 v15, v120, v15
	v_fmac_f16_e32 v1, -0.5, v122
	v_add_f16_e64 v107, v124, v130
	v_fmac_f16_e32 v32, -0.5, v127
	v_add_f16_e32 v119, v2, v6
	v_add_f16_e32 v120, v6, v31
	v_sub_f16_e32 v122, v116, v125
	v_add_f16_e32 v124, v118, v116
	v_add_f16_e32 v116, v116, v125
	v_add_f16_e64 v128, v7, v117
	v_sub_f16_e64 v130, v129, v132
	v_add_f16_e64 v131, v121, v129
	v_add_f16_e64 v129, v129, v132
	v_add_f16_e32 v127, v3, v7
	v_sub_f16_e64 v133, v7, v117
	v_add_f16_e32 v7, v5, v4
	v_add_f16_e64 v134, v9, v8
	v_sub_f16_e32 v126, v6, v31
	v_fma_f16 v135, 0x3aee, v106, v29
	v_fmac_f16_e32 v29, 0xbaee, v106
	v_fmamk_f16 v106, v10, 0xbaee, v13
	v_fmac_f16_e32 v13, 0x3aee, v10
	v_fmamk_f16 v10, v123, 0x3aee, v1
	;; [unrolled: 2-line block ×3, first 2 shown]
	v_fmac_f16_e32 v32, 0x3aee, v11
	v_add_f16_e32 v11, v119, v31
	v_fma_f16 v31, -0.5, v120, v2
	v_fmac_f16_e32 v118, -0.5, v116
	v_fmac_f16_e64 v3, -0.5, v128
	v_fmac_f16_e64 v121, -0.5, v129
	v_sub_f16_e32 v0, v9, v8
	v_sub_f16_e32 v6, v5, v4
	v_fma_f16 v2, -0.5, v7, v33
	v_fma_f16 v7, -0.5, v134, v34
	v_add_f16_e32 v119, v124, v125
	v_pack_b32_f16 v14, v14, v30
	v_pack_b32_f16 v15, v15, v107
	v_fmamk_f16 v30, v122, 0x3aee, v31
	v_fmamk_f16 v107, v126, 0xbaee, v118
	v_pack_b32_f16 v106, v135, v106
	v_fmac_f16_e32 v31, 0xbaee, v122
	v_fmac_f16_e32 v118, 0x3aee, v126
	v_pack_b32_f16 v13, v29, v13
	v_add_f16_e32 v116, v127, v117
	v_add_f16_e64 v117, v131, v132
	v_fma_f16 v120, 0x3aee, v130, v3
	v_fma_f16 v122, 0xbaee, v133, v121
	v_pack_b32_f16 v10, v10, v123
	v_fmac_f16_e64 v3, 0xbaee, v130
	v_fmac_f16_e64 v121, 0x3aee, v133
	v_fma_f16 v140, 0xbaee, v0, v2
	v_fma_f16 v141, 0x3aee, v6, v7
	v_pack_b32_f16 v1, v1, v32
	v_pack_b32_f16 v11, v11, v119
	ds_store_2addr_b32 v105, v14, v106 offset1:12
	ds_store_b32 v105, v13 offset:96
	ds_store_2addr_b32 v102, v15, v10 offset1:12
	v_pack_b32_f16 v10, v30, v107
	v_pack_b32_f16 v13, v31, v118
	;; [unrolled: 1-line block ×5, first 2 shown]
	ds_store_b32 v102, v1 offset:96
	ds_store_2addr_b32 v101, v11, v10 offset1:12
	ds_store_b32 v101, v13 offset:96
	ds_store_2addr_b32 v100, v29, v14 offset1:12
	ds_store_b32 v100, v3 offset:96
	s_and_saveexec_b32 s0, vcc_lo
	s_cbranch_execz .LBB0_9
; %bb.8:
	v_mul_f16_e32 v1, 0x3aee, v6
	v_add_f16_e32 v3, v34, v9
	v_add_f16_e32 v5, v33, v5
	v_mul_f16_e32 v0, 0x3aee, v0
	v_and_b32_e32 v6, 0xffff, v96
	v_sub_f16_e32 v1, v7, v1
	v_add_f16_e32 v3, v3, v8
	v_add_f16_e32 v4, v5, v4
	;; [unrolled: 1-line block ×3, first 2 shown]
	v_lshlrev_b32_e32 v2, 2, v6
	s_delay_alu instid0(VALU_DEP_3) | instskip(NEXT) | instid1(VALU_DEP_3)
	v_pack_b32_f16 v3, v4, v3
	v_pack_b32_f16 v0, v0, v1
	v_perm_b32 v1, v141, v140, 0x5040100
	ds_store_2addr_b32 v2, v3, v0 offset1:12
	ds_store_b32 v2, v1 offset:96
.LBB0_9:
	s_wait_alu 0xfffe
	s_or_b32 exec_lo, exec_lo, s0
	v_mul_lo_u16 v0, v36, 57
	global_wb scope:SCOPE_SE
	s_wait_dscnt 0x0
	s_barrier_signal -1
	s_barrier_wait -1
	global_inv scope:SCOPE_SE
	v_lshrrev_b16 v106, 11, v0
	v_mul_lo_u16 v0, v35, 57
	v_add_nc_u32_e32 v144, 0x200, v75
	v_add_nc_u32_e32 v147, 0x600, v75
	;; [unrolled: 1-line block ×3, first 2 shown]
	v_mul_lo_u16 v1, v106, 36
	v_lshrrev_b16 v107, 11, v0
	v_add_nc_u32_e32 v148, 0xe00, v75
	v_add_nc_u32_e32 v146, 0x1200, v75
	;; [unrolled: 1-line block ×3, first 2 shown]
	v_sub_nc_u16 v0, v69, v1
	v_mul_lo_u16 v1, v107, 36
	v_and_b32_e32 v106, 0xffff, v106
	v_and_b32_e32 v107, 0xffff, v107
	v_mad_co_u64_u32 v[129:130], null, v69, 24, s[10:11]
	s_delay_alu instid0(VALU_DEP_4)
	v_sub_nc_u16 v2, v12, v1
	v_and_b32_e32 v116, 0xff, v0
	v_mul_u32_u24_e32 v106, 0xfc, v106
	v_mul_u32_u24_e32 v118, 0xfc, v107
	s_add_nc_u64 s[0:1], s[8:9], 0x1b90
	v_and_b32_e32 v117, 0xff, v2
	v_mad_co_u64_u32 v[0:1], null, v116, 24, s[10:11]
	v_add_lshl_u32 v107, v106, v116, 2
	s_delay_alu instid0(VALU_DEP_3)
	v_mad_co_u64_u32 v[8:9], null, v117, 24, s[10:11]
	v_add_lshl_u32 v106, v118, v117, 2
	s_clause 0x3
	global_load_b128 v[4:7], v[0:1], off offset:136
	global_load_b64 v[31:32], v[0:1], off offset:152
	global_load_b128 v[0:3], v[8:9], off offset:136
	global_load_b64 v[29:30], v[8:9], off offset:152
	ds_load_2addr_b32 v[8:9], v75 offset1:126
	ds_load_2addr_b32 v[10:11], v144 offset0:124 offset1:250
	ds_load_2addr_b32 v[12:13], v147 offset0:120 offset1:246
	;; [unrolled: 1-line block ×6, first 2 shown]
	global_wb scope:SCOPE_SE
	s_wait_loadcnt_dscnt 0x0
	s_barrier_signal -1
	s_barrier_wait -1
	global_inv scope:SCOPE_SE
	v_lshrrev_b32_e32 v126, 16, v10
	v_lshrrev_b32_e32 v132, 16, v12
	;; [unrolled: 1-line block ×26, first 2 shown]
	v_mul_f16_e64 v156, v126, v137
	v_mul_f16_e64 v157, v10, v137
	;; [unrolled: 1-line block ×24, first 2 shown]
	v_fma_f16 v10, v10, v4, -v156
	v_fmac_f16_e64 v157, v126, v4
	v_fma_f16 v12, v12, v5, -v158
	v_fmac_f16_e64 v159, v132, v5
	;; [unrolled: 2-line block ×12, first 2 shown]
	v_add_f16_e32 v126, v10, v119
	v_add_f16_e64 v132, v157, v167
	v_add_f16_e64 v134, v12, v35
	;; [unrolled: 1-line block ×3, first 2 shown]
	v_sub_f16_e32 v10, v10, v119
	v_sub_f16_e64 v119, v157, v167
	v_sub_f16_e32 v12, v12, v35
	v_sub_f16_e64 v35, v159, v165
	v_add_f16_e64 v138, v14, v33
	v_add_f16_e64 v139, v161, v163
	v_sub_f16_e32 v14, v33, v14
	v_sub_f16_e64 v33, v163, v161
	v_add_f16_e64 v150, v11, v120
	v_add_f16_e64 v151, v169, v179
	;; [unrolled: 1-line block ×4, first 2 shown]
	v_sub_f16_e32 v11, v11, v120
	v_sub_f16_e64 v120, v169, v179
	v_sub_f16_e32 v13, v13, v36
	v_sub_f16_e64 v36, v171, v177
	v_add_f16_e64 v154, v15, v34
	v_sub_f16_e32 v15, v34, v15
	v_sub_f16_e64 v34, v175, v173
	v_add_f16_e64 v156, v134, v126
	v_add_f16_e64 v157, v136, v132
	;; [unrolled: 1-line block ×3, first 2 shown]
	v_sub_f16_e64 v158, v134, v126
	v_sub_f16_e64 v159, v136, v132
	;; [unrolled: 1-line block ×6, first 2 shown]
	v_add_f16_e64 v160, v14, v12
	v_add_f16_e64 v161, v33, v35
	v_sub_f16_e64 v162, v14, v12
	v_sub_f16_e64 v163, v33, v35
	v_sub_f16_e32 v12, v12, v10
	v_sub_f16_e32 v35, v35, v119
	v_add_f16_e64 v164, v152, v150
	v_add_f16_e64 v165, v153, v151
	;; [unrolled: 1-line block ×4, first 2 shown]
	v_sub_f16_e64 v170, v15, v13
	v_sub_f16_e64 v171, v34, v36
	v_sub_f16_e32 v13, v13, v11
	v_sub_f16_e32 v36, v36, v120
	v_add_f16_e64 v138, v138, v156
	v_add_f16_e64 v139, v139, v157
	v_sub_f16_e32 v14, v10, v14
	v_sub_f16_e32 v33, v119, v33
	v_sub_f16_e64 v166, v152, v150
	v_sub_f16_e64 v167, v153, v151
	;; [unrolled: 1-line block ×6, first 2 shown]
	v_add_f16_e64 v10, v160, v10
	v_add_f16_e64 v119, v161, v119
	v_mul_f16_e32 v126, 0x3a52, v126
	v_mul_f16_e64 v132, 0x3a52, v132
	v_mul_f16_e64 v156, 0x2b26, v134
	;; [unrolled: 1-line block ×7, first 2 shown]
	v_add_f16_e64 v154, v154, v164
	v_add_f16_e64 v155, v155, v165
	v_sub_f16_e32 v15, v11, v15
	v_sub_f16_e32 v34, v120, v34
	v_add_f16_e64 v11, v168, v11
	v_add_f16_e64 v120, v169, v120
	v_mul_f16_e64 v168, 0xb846, v170
	v_mul_f16_e64 v169, 0xb846, v171
	;; [unrolled: 1-line block ×4, first 2 shown]
	v_add_f16_e64 v8, v8, v138
	v_add_f16_e64 v122, v122, v139
	v_mul_f16_e64 v150, 0x3a52, v150
	v_mul_f16_e64 v151, 0x3a52, v151
	;; [unrolled: 1-line block ×4, first 2 shown]
	v_fma_f16 v134, 0x2b26, v134, v126
	v_fma_f16 v136, 0x2b26, v136, v132
	v_fma_f16 v156, v158, 0x39e0, -v156
	v_fma_f16 v157, v159, 0x39e0, -v157
	v_fma_f16 v126, v158, 0xb9e0, -v126
	v_fma_f16 v132, v159, 0xb9e0, -v132
	v_fma_f16 v158, 0x3574, v14, v160
	v_fma_f16 v159, 0x3574, v33, v161
	v_fma_f16 v12, v12, 0x3b00, -v160
	v_fma_f16 v35, v35, 0x3b00, -v161
	v_fma_f16 v14, v14, 0xb574, -v162
	v_fma_f16 v33, v33, 0xb574, -v163
	v_add_f16_e64 v9, v9, v154
	v_add_f16_e64 v124, v124, v155
	v_fma_f16 v162, 0x3574, v15, v168
	v_fma_f16 v163, 0x3574, v34, v169
	v_fma_f16 v13, v13, 0x3b00, -v168
	v_fma_f16 v36, v36, 0x3b00, -v169
	;; [unrolled: 1-line block ×4, first 2 shown]
	v_fma_f16 v138, 0xbcab, v138, v8
	v_fma_f16 v139, 0xbcab, v139, v122
	v_fma_f16 v152, 0x2b26, v152, v150
	v_fma_f16 v153, 0x2b26, v153, v151
	v_fma_f16 v160, v166, 0x39e0, -v164
	v_fma_f16 v161, v167, 0x39e0, -v165
	;; [unrolled: 1-line block ×4, first 2 shown]
	v_fmac_f16_e64 v158, 0x370e, v10
	v_fmac_f16_e64 v159, 0x370e, v119
	v_fmac_f16_e32 v12, 0x370e, v10
	v_fmac_f16_e32 v35, 0x370e, v119
	v_fmac_f16_e32 v14, 0x370e, v10
	v_fmac_f16_e32 v33, 0x370e, v119
	v_fma_f16 v10, 0xbcab, v154, v9
	v_fma_f16 v119, 0xbcab, v155, v124
	v_fmac_f16_e64 v162, 0x370e, v11
	v_fmac_f16_e64 v163, 0x370e, v120
	v_fmac_f16_e32 v13, 0x370e, v11
	v_fmac_f16_e32 v36, 0x370e, v120
	;; [unrolled: 1-line block ×4, first 2 shown]
	v_add_f16_e64 v11, v134, v138
	v_add_f16_e64 v120, v136, v139
	v_pack_b32_f16 v8, v8, v122
	v_pack_b32_f16 v9, v9, v124
	v_add_f16_e64 v122, v156, v138
	v_add_f16_e64 v124, v157, v139
	v_add_f16_e64 v126, v126, v138
	v_add_f16_e64 v132, v132, v139
	v_add_f16_e64 v134, v152, v10
	v_add_f16_e64 v136, v153, v119
	v_add_f16_e64 v138, v160, v10
	v_add_f16_e64 v139, v161, v119
	v_add_f16_e64 v10, v150, v10
	v_add_f16_e64 v119, v151, v119
	v_add_f16_e64 v150, v159, v11
	v_sub_f16_e64 v151, v120, v158
	v_add_f16_e64 v152, v33, v126
	v_sub_f16_e64 v153, v132, v14
	v_sub_f16_e64 v154, v122, v35
	v_add_f16_e64 v155, v12, v124
	v_add_f16_e32 v35, v35, v122
	v_sub_f16_e32 v12, v124, v12
	v_sub_f16_e32 v33, v126, v33
	v_add_f16_e64 v14, v14, v132
	v_sub_f16_e64 v11, v11, v159
	v_add_f16_e64 v120, v158, v120
	v_add_f16_e64 v122, v163, v134
	v_sub_f16_e64 v124, v136, v162
	v_add_f16_e32 v126, v34, v10
	v_sub_f16_e64 v132, v119, v15
	v_sub_f16_e64 v156, v138, v36
	v_add_f16_e64 v157, v13, v139
	v_add_f16_e64 v36, v36, v138
	v_sub_f16_e64 v13, v139, v13
	v_sub_f16_e32 v10, v10, v34
	v_add_f16_e32 v15, v15, v119
	v_sub_f16_e64 v34, v134, v163
	v_add_f16_e64 v119, v162, v136
	v_pack_b32_f16 v134, v150, v151
	v_pack_b32_f16 v136, v152, v153
	;; [unrolled: 1-line block ×12, first 2 shown]
	ds_store_2addr_b32 v107, v8, v134 offset1:36
	ds_store_2addr_b32 v107, v136, v138 offset0:72 offset1:108
	ds_store_2addr_b32 v107, v12, v14 offset0:144 offset1:180
	ds_store_b32 v107, v11 offset:864
	ds_store_2addr_b32 v106, v9, v33 offset1:36
	ds_store_2addr_b32 v106, v35, v120 offset0:72 offset1:108
	ds_store_2addr_b32 v106, v13, v10 offset0:144 offset1:180
	ds_store_b32 v106, v15 offset:864
	global_wb scope:SCOPE_SE
	s_wait_dscnt 0x0
	s_barrier_signal -1
	s_barrier_wait -1
	global_inv scope:SCOPE_SE
	s_clause 0x3
	global_load_b128 v[12:15], v[129:130], off offset:1000
	global_load_b64 v[33:34], v[129:130], off offset:1016
	global_load_b128 v[8:11], v[129:130], off offset:4024
	global_load_b64 v[35:36], v[129:130], off offset:4040
	ds_load_2addr_b32 v[150:151], v75 offset1:126
	ds_load_2addr_b32 v[152:153], v144 offset0:124 offset1:250
	ds_load_2addr_b32 v[154:155], v147 offset0:120 offset1:246
	;; [unrolled: 1-line block ×6, first 2 shown]
	s_wait_dscnt 0x6
	v_lshrrev_b32_e32 v164, 16, v150
	s_wait_dscnt 0x5
	v_lshrrev_b32_e32 v165, 16, v152
	;; [unrolled: 2-line block ×7, first 2 shown]
	v_lshrrev_b32_e32 v172, 16, v153
	v_lshrrev_b32_e32 v173, 16, v155
	;; [unrolled: 1-line block ×7, first 2 shown]
	s_wait_loadcnt 0x3
	v_lshrrev_b32_e32 v139, 16, v12
	v_lshrrev_b32_e32 v138, 16, v13
	s_wait_loadcnt 0x2
	v_lshrrev_b32_e32 v132, 16, v33
	v_lshrrev_b32_e32 v130, 16, v34
	v_lshrrev_b32_e32 v136, 16, v14
	v_lshrrev_b32_e32 v134, 16, v15
	s_wait_loadcnt 0x1
	v_lshrrev_b32_e32 v129, 16, v8
	v_lshrrev_b32_e32 v126, 16, v9
	v_lshrrev_b32_e32 v124, 16, v10
	v_lshrrev_b32_e32 v122, 16, v11
	s_wait_loadcnt 0x0
	v_lshrrev_b32_e32 v120, 16, v35
	v_lshrrev_b32_e32 v119, 16, v36
	v_mul_f16_e64 v178, v165, v139
	v_mul_f16_e64 v179, v152, v139
	;; [unrolled: 1-line block ×24, first 2 shown]
	v_fma_f16 v152, v152, v12, -v178
	v_fmac_f16_e64 v179, v165, v12
	v_fma_f16 v154, v154, v13, -v180
	v_fmac_f16_e64 v181, v166, v13
	;; [unrolled: 2-line block ×12, first 2 shown]
	v_add_f16_e64 v165, v152, v162
	v_add_f16_e64 v166, v179, v189
	;; [unrolled: 1-line block ×4, first 2 shown]
	v_sub_f16_e64 v152, v152, v162
	v_sub_f16_e64 v162, v179, v189
	;; [unrolled: 1-line block ×4, first 2 shown]
	v_add_f16_e64 v169, v156, v158
	v_add_f16_e64 v170, v183, v185
	v_sub_f16_e64 v156, v158, v156
	v_sub_f16_e64 v158, v185, v183
	v_add_f16_e64 v172, v153, v163
	v_add_f16_e64 v173, v191, v201
	v_sub_f16_e64 v153, v153, v163
	v_sub_f16_e64 v163, v191, v201
	v_add_f16_e64 v174, v155, v161
	v_add_f16_e64 v175, v193, v199
	v_sub_f16_e64 v155, v155, v161
	v_sub_f16_e64 v161, v193, v199
	v_add_f16_e64 v176, v157, v159
	v_sub_f16_e64 v157, v159, v157
	v_sub_f16_e64 v159, v197, v195
	v_add_f16_e64 v178, v167, v165
	v_add_f16_e64 v179, v168, v166
	;; [unrolled: 1-line block ×3, first 2 shown]
	v_sub_f16_e64 v180, v167, v165
	v_sub_f16_e64 v181, v168, v166
	;; [unrolled: 1-line block ×6, first 2 shown]
	v_add_f16_e64 v182, v156, v154
	v_add_f16_e64 v183, v158, v160
	v_sub_f16_e64 v184, v156, v154
	v_sub_f16_e64 v185, v158, v160
	;; [unrolled: 1-line block ×4, first 2 shown]
	v_add_f16_e64 v186, v174, v172
	v_add_f16_e64 v187, v175, v173
	;; [unrolled: 1-line block ×4, first 2 shown]
	v_sub_f16_e64 v192, v157, v155
	v_sub_f16_e64 v193, v159, v161
	;; [unrolled: 1-line block ×4, first 2 shown]
	v_add_f16_e64 v169, v169, v178
	v_add_f16_e64 v170, v170, v179
	v_sub_f16_e64 v156, v152, v156
	v_sub_f16_e64 v158, v162, v158
	v_sub_f16_e64 v188, v174, v172
	v_sub_f16_e64 v189, v175, v173
	v_sub_f16_e64 v172, v172, v176
	v_sub_f16_e64 v173, v173, v177
	v_sub_f16_e64 v174, v176, v174
	v_sub_f16_e64 v175, v177, v175
	v_sub_f16_e64 v157, v153, v157
	v_sub_f16_e64 v159, v163, v159
	v_add_f16_e64 v152, v182, v152
	v_add_f16_e64 v162, v183, v162
	v_mul_f16_e64 v165, 0x3a52, v165
	v_mul_f16_e64 v166, 0x3a52, v166
	;; [unrolled: 1-line block ×8, first 2 shown]
	v_add_f16_e64 v176, v176, v186
	v_add_f16_e64 v177, v177, v187
	;; [unrolled: 1-line block ×4, first 2 shown]
	v_mul_f16_e64 v190, 0xb846, v192
	v_mul_f16_e64 v191, 0xb846, v193
	;; [unrolled: 1-line block ×4, first 2 shown]
	v_add_f16_e64 v150, v150, v169
	v_add_f16_e64 v164, v164, v170
	v_mul_f16_e64 v172, 0x3a52, v172
	v_mul_f16_e64 v173, 0x3a52, v173
	;; [unrolled: 1-line block ×4, first 2 shown]
	v_fma_f16 v167, 0x2b26, v167, v165
	v_fma_f16 v168, 0x2b26, v168, v166
	v_fma_f16 v178, v180, 0x39e0, -v178
	v_fma_f16 v179, v181, 0x39e0, -v179
	;; [unrolled: 1-line block ×4, first 2 shown]
	v_fma_f16 v180, 0x3574, v156, v182
	v_fma_f16 v181, 0x3574, v158, v183
	v_fma_f16 v154, v154, 0x3b00, -v182
	v_fma_f16 v160, v160, 0x3b00, -v183
	;; [unrolled: 1-line block ×4, first 2 shown]
	v_add_f16_e64 v151, v151, v176
	v_add_f16_e64 v171, v171, v177
	v_fma_f16 v184, 0x3574, v157, v190
	v_fma_f16 v185, 0x3574, v159, v191
	v_fma_f16 v155, v155, 0x3b00, -v190
	v_fma_f16 v161, v161, 0x3b00, -v191
	;; [unrolled: 1-line block ×4, first 2 shown]
	v_fma_f16 v169, 0xbcab, v169, v150
	v_fma_f16 v170, 0xbcab, v170, v164
	;; [unrolled: 1-line block ×4, first 2 shown]
	v_fma_f16 v182, v188, 0x39e0, -v186
	v_fma_f16 v183, v189, 0x39e0, -v187
	;; [unrolled: 1-line block ×4, first 2 shown]
	v_fmac_f16_e64 v180, 0x370e, v152
	v_fmac_f16_e64 v181, 0x370e, v162
	;; [unrolled: 1-line block ×6, first 2 shown]
	v_fma_f16 v152, 0xbcab, v176, v151
	v_fma_f16 v162, 0xbcab, v177, v171
	v_fmac_f16_e64 v184, 0x370e, v153
	v_fmac_f16_e64 v185, 0x370e, v163
	;; [unrolled: 1-line block ×6, first 2 shown]
	v_add_f16_e64 v153, v167, v169
	v_add_f16_e64 v163, v168, v170
	;; [unrolled: 1-line block ×4, first 2 shown]
	v_pack_b32_f16 v150, v150, v164
	v_add_f16_e64 v164, v178, v169
	v_add_f16_e64 v167, v179, v170
	v_pack_b32_f16 v151, v151, v171
	v_add_f16_e64 v168, v174, v152
	v_add_f16_e64 v169, v175, v162
	;; [unrolled: 1-line block ×7, first 2 shown]
	v_sub_f16_e64 v173, v163, v180
	v_add_f16_e64 v174, v158, v165
	v_sub_f16_e64 v175, v166, v156
	v_sub_f16_e64 v176, v164, v160
	v_add_f16_e64 v177, v154, v167
	v_add_f16_e64 v160, v160, v164
	v_sub_f16_e64 v154, v167, v154
	v_sub_f16_e64 v158, v165, v158
	v_add_f16_e64 v156, v156, v166
	v_sub_f16_e64 v153, v153, v181
	v_add_f16_e64 v163, v180, v163
	v_add_f16_e64 v164, v185, v168
	v_sub_f16_e64 v165, v169, v184
	v_add_f16_e64 v166, v159, v152
	v_sub_f16_e64 v167, v162, v157
	v_sub_f16_e64 v178, v170, v161
	v_add_f16_e64 v179, v155, v171
	v_add_f16_e64 v161, v161, v170
	v_sub_f16_e64 v155, v171, v155
	v_sub_f16_e64 v152, v152, v159
	v_add_f16_e64 v157, v157, v162
	v_sub_f16_e64 v159, v168, v185
	v_add_f16_e64 v162, v184, v169
	v_pack_b32_f16 v168, v172, v173
	v_pack_b32_f16 v169, v174, v175
	;; [unrolled: 1-line block ×12, first 2 shown]
	ds_store_b32 v75, v168 offset:1008
	ds_store_b32 v75, v169 offset:2016
	;; [unrolled: 1-line block ×6, first 2 shown]
	ds_store_2addr_b32 v75, v150, v151 offset1:126
	ds_store_b32 v75, v158 offset:1512
	ds_store_b32 v75, v160 offset:2520
	;; [unrolled: 1-line block ×6, first 2 shown]
	global_wb scope:SCOPE_SE
	s_wait_dscnt 0x0
	s_barrier_signal -1
	s_barrier_wait -1
	global_inv scope:SCOPE_SE
	global_load_b32 v150, v[37:38], off offset:7056
	v_lshlrev_b32_e32 v37, 2, v69
	s_clause 0xc
	global_load_b32 v160, v37, s[0:1] offset:3528
	global_load_b32 v161, v37, s[0:1] offset:504
	;; [unrolled: 1-line block ×13, first 2 shown]
	ds_load_2addr_b32 v[37:38], v75 offset1:126
	v_add_nc_u32_e32 v173, 0xc00, v75
	v_add_nc_u32_e32 v174, 0x1000, v75
	v_add_nc_u32_e32 v175, 0x400, v75
	v_add_nc_u32_e32 v176, 0x1400, v75
	v_add_nc_u32_e32 v177, 0x800, v75
	s_wait_dscnt 0x0
	v_lshrrev_b32_e32 v151, 16, v37
	v_lshrrev_b32_e32 v178, 16, v38
	s_wait_loadcnt 0xc
	v_lshrrev_b32_e32 v179, 16, v160
	s_wait_loadcnt 0xb
	;; [unrolled: 2-line block ×6, first 2 shown]
	v_lshrrev_b32_e32 v183, 16, v165
	v_lshrrev_b32_e32 v152, 16, v150
	v_mul_f16_e64 v187, v38, v156
	s_wait_loadcnt 0x6
	v_lshrrev_b32_e32 v184, 16, v166
	s_wait_loadcnt 0x5
	v_lshrrev_b32_e32 v185, 16, v167
	;; [unrolled: 2-line block ×3, first 2 shown]
	v_mul_f16_e64 v153, v151, v152
	v_mul_f16_e64 v152, v37, v152
	v_fmac_f16_e64 v187, v178, v161
	s_wait_loadcnt 0x3
	v_lshrrev_b32_e32 v188, 16, v169
	s_wait_loadcnt 0x0
	v_lshrrev_b32_e32 v190, 16, v172
	v_fma_f16 v37, v37, v150, -v153
	v_fmac_f16_e64 v152, v151, v150
	s_delay_alu instid0(VALU_DEP_1)
	v_pack_b32_f16 v37, v37, v152
	ds_store_b32 v75, v37
	v_mul_f16_e64 v37, v178, v156
	ds_load_2addr_b32 v[150:151], v149 offset0:116 offset1:242
	ds_load_2addr_b32 v[152:153], v148 offset0:112 offset1:238
	;; [unrolled: 1-line block ×5, first 2 shown]
	v_fma_f16 v189, v38, v161, -v37
	ds_load_2addr_b32 v[37:38], v145 offset0:104 offset1:230
	v_lshrrev_b32_e32 v161, 16, v170
	v_lshrrev_b32_e32 v178, 16, v171
	v_pack_b32_f16 v187, v189, v187
	s_wait_dscnt 0x5
	v_lshrrev_b32_e32 v189, 16, v151
	s_wait_dscnt 0x4
	v_lshrrev_b32_e32 v192, 16, v152
	;; [unrolled: 2-line block ×3, first 2 shown]
	v_lshrrev_b32_e32 v196, 16, v153
	s_wait_dscnt 0x2
	v_lshrrev_b32_e32 v200, 16, v156
	v_lshrrev_b32_e32 v198, 16, v155
	s_wait_dscnt 0x1
	v_lshrrev_b32_e32 v202, 16, v158
	v_mul_f16_e64 v191, v151, v179
	v_lshrrev_b32_e32 v204, 16, v157
	v_lshrrev_b32_e32 v206, 16, v159
	s_wait_dscnt 0x0
	v_lshrrev_b32_e32 v208, 16, v37
	v_lshrrev_b32_e32 v210, 16, v150
	v_lshrrev_b32_e32 v212, 16, v38
	v_mul_f16_e64 v193, v152, v180
	v_mul_f16_e64 v179, v189, v179
	v_mul_f16_e64 v180, v192, v180
	v_mul_f16_e64 v195, v154, v181
	v_mul_f16_e64 v181, v194, v181
	v_mul_f16_e64 v197, v153, v182
	v_mul_f16_e64 v201, v156, v184
	v_mul_f16_e64 v182, v196, v182
	v_mul_f16_e64 v184, v200, v184
	v_mul_f16_e64 v199, v155, v183
	v_mul_f16_e64 v203, v158, v185
	v_mul_f16_e64 v183, v198, v183
	v_mul_f16_e64 v185, v202, v185
	v_mul_f16_e64 v205, v157, v186
	v_mul_f16_e64 v207, v159, v188
	v_mul_f16_e64 v209, v37, v161
	v_mul_f16_e64 v211, v150, v178
	v_mul_f16_e64 v213, v38, v190
	v_fmac_f16_e64 v191, v189, v160
	v_mul_f16_e64 v186, v204, v186
	v_mul_f16_e64 v188, v206, v188
	;; [unrolled: 1-line block ×5, first 2 shown]
	v_fmac_f16_e64 v193, v192, v162
	v_fma_f16 v151, v151, v160, -v179
	v_fma_f16 v152, v152, v162, -v180
	v_fmac_f16_e64 v195, v194, v163
	v_fma_f16 v154, v154, v163, -v181
	v_fmac_f16_e64 v197, v196, v164
	v_fmac_f16_e64 v201, v200, v166
	v_fma_f16 v153, v153, v164, -v182
	v_fma_f16 v156, v156, v166, -v184
	v_fmac_f16_e64 v199, v198, v165
	v_fmac_f16_e64 v203, v202, v167
	v_fma_f16 v155, v155, v165, -v183
	v_fma_f16 v158, v158, v167, -v185
	v_fmac_f16_e64 v205, v204, v168
	v_fmac_f16_e64 v207, v206, v169
	;; [unrolled: 1-line block ×5, first 2 shown]
	v_fma_f16 v157, v157, v168, -v186
	v_fma_f16 v159, v159, v169, -v188
	;; [unrolled: 1-line block ×5, first 2 shown]
	v_pack_b32_f16 v151, v151, v191
	v_pack_b32_f16 v152, v152, v193
	;; [unrolled: 1-line block ×12, first 2 shown]
	ds_store_2addr_b32 v173, v151, v152 offset0:114 offset1:240
	ds_store_2addr_b32 v75, v187, v154 offset0:126 offset1:252
	;; [unrolled: 1-line block ×6, first 2 shown]
	ds_store_b32 v75, v38 offset:6552
	global_wb scope:SCOPE_SE
	s_wait_dscnt 0x0
	s_barrier_signal -1
	s_barrier_wait -1
	global_inv scope:SCOPE_SE
	ds_load_2addr_b32 v[37:38], v75 offset1:126
	ds_load_2addr_b32 v[150:151], v149 offset0:116 offset1:242
	ds_load_2addr_b32 v[152:153], v148 offset0:112 offset1:238
	;; [unrolled: 1-line block ×6, first 2 shown]
	global_wb scope:SCOPE_SE
	s_wait_dscnt 0x0
	s_barrier_signal -1
	s_barrier_wait -1
	global_inv scope:SCOPE_SE
	v_pk_add_f16 v162, v37, v151 neg_lo:[0,1] neg_hi:[0,1]
	v_pk_add_f16 v152, v38, v152 neg_lo:[0,1] neg_hi:[0,1]
	;; [unrolled: 1-line block ×7, first 2 shown]
	v_pk_fma_f16 v161, v37, 2.0, v162 op_sel_hi:[1,0,1] neg_lo:[0,0,1] neg_hi:[0,0,1]
	v_pk_fma_f16 v151, v38, 2.0, v152 op_sel_hi:[1,0,1] neg_lo:[0,0,1] neg_hi:[0,0,1]
	;; [unrolled: 1-line block ×7, first 2 shown]
	ds_store_b64 v40, v[161:162]
	ds_store_b64 v82, v[151:152]
	;; [unrolled: 1-line block ×7, first 2 shown]
	global_wb scope:SCOPE_SE
	s_wait_dscnt 0x0
	s_barrier_signal -1
	s_barrier_wait -1
	global_inv scope:SCOPE_SE
	ds_load_2addr_b32 v[37:38], v75 offset1:126
	ds_load_2addr_b32 v[80:81], v149 offset0:116 offset1:242
	ds_load_2addr_b32 v[142:143], v148 offset0:112 offset1:238
	;; [unrolled: 1-line block ×6, first 2 shown]
	global_wb scope:SCOPE_SE
	s_wait_dscnt 0x0
	s_barrier_signal -1
	s_barrier_wait -1
	global_inv scope:SCOPE_SE
	v_lshrrev_b32_e32 v40, 16, v37
	v_lshrrev_b32_e32 v48, 16, v81
	;; [unrolled: 1-line block ×3, first 2 shown]
	v_mul_f16_e64 v166, v86, v81
	v_lshrrev_b32_e32 v157, 16, v143
	v_mul_f16_e64 v167, v86, v142
	v_lshrrev_b32_e32 v159, 16, v150
	;; [unrolled: 2-line block ×4, first 2 shown]
	v_lshrrev_b32_e32 v165, 16, v155
	v_mul_f16_e64 v170, v86, v151
	v_mul_f16_e64 v174, v86, v48
	v_fma_f16 v48, v39, v48, -v166
	v_mul_f16_e64 v166, v86, v82
	v_fma_f16 v82, v39, v82, -v167
	v_mul_f16_e64 v167, v86, v157
	v_fma_f16 v157, v39, v157, -v168
	v_mul_f16_e64 v168, v86, v159
	v_fma_f16 v159, v39, v159, -v169
	v_mul_f16_e64 v169, v86, v161
	v_mul_f16_e64 v171, v86, v154
	;; [unrolled: 1-line block ×3, first 2 shown]
	v_fma_f16 v161, v39, v161, -v170
	v_mul_f16_e64 v170, v86, v163
	v_mul_f16_e64 v86, v86, v165
	v_fmac_f16_e64 v174, v39, v81
	v_lshrrev_b32_e32 v147, 16, v38
	v_fmac_f16_e64 v166, v39, v142
	v_lshrrev_b32_e32 v156, 16, v148
	;; [unrolled: 2-line block ×5, first 2 shown]
	v_lshrrev_b32_e32 v164, 16, v80
	v_fma_f16 v163, v39, v163, -v171
	v_fma_f16 v165, v39, v165, -v172
	v_fmac_f16_e64 v170, v39, v154
	v_fmac_f16_e64 v86, v39, v155
	v_sub_f16_e32 v39, v40, v48
	v_sub_f16_e64 v154, v37, v174
	v_sub_f16_e64 v48, v147, v82
	;; [unrolled: 1-line block ×11, first 2 shown]
	v_fma_f16 v40, v40, 2.0, -v39
	v_sub_f16_e64 v163, v153, v170
	v_sub_f16_e32 v86, v80, v86
	v_fma_f16 v37, v37, 2.0, -v154
	v_fma_f16 v147, v147, 2.0, -v48
	v_fma_f16 v38, v38, 2.0, -v155
	v_fma_f16 v156, v156, 2.0, -v142
	v_fma_f16 v148, v148, 2.0, -v157
	v_fma_f16 v158, v158, 2.0, -v143
	v_fma_f16 v149, v149, 2.0, -v159
	v_fma_f16 v160, v160, 2.0, -v150
	v_fma_f16 v152, v152, 2.0, -v161
	v_fma_f16 v162, v162, 2.0, -v151
	v_fma_f16 v81, v164, 2.0, -v82
	v_fma_f16 v153, v153, 2.0, -v163
	v_fma_f16 v80, v80, 2.0, -v86
	v_pack_b32_f16 v39, v154, v39
	v_pack_b32_f16 v37, v37, v40
	;; [unrolled: 1-line block ×14, first 2 shown]
	ds_store_2addr_b32 v41, v37, v39 offset1:2
	ds_store_2addr_b32 v42, v38, v48 offset1:2
	;; [unrolled: 1-line block ×7, first 2 shown]
	global_wb scope:SCOPE_SE
	s_wait_dscnt 0x0
	s_barrier_signal -1
	s_barrier_wait -1
	global_inv scope:SCOPE_SE
	ds_load_2addr_b32 v[39:40], v75 offset1:126
	ds_load_2addr_b32 v[47:48], v177 offset0:76 offset1:202
	ds_load_2addr_b32 v[45:46], v146 offset0:24 offset1:150
	ds_load_2addr_b32 v[37:38], v144 offset0:124 offset1:250
	ds_load_2addr_b32 v[43:44], v173 offset0:72 offset1:198
	ds_load_2addr_b32 v[41:42], v145 offset0:20 offset1:146
	s_and_saveexec_b32 s0, vcc_lo
	s_cbranch_execz .LBB0_11
; %bb.10:
	ds_load_b32 v80, v75 offset:2016
	ds_load_b32 v86, v75 offset:4368
	;; [unrolled: 1-line block ×3, first 2 shown]
	s_wait_dscnt 0x2
	v_lshrrev_b32_e32 v81, 16, v80
	s_wait_dscnt 0x1
	v_lshrrev_b32_e32 v82, 16, v86
	;; [unrolled: 2-line block ×3, first 2 shown]
.LBB0_11:
	s_wait_alu 0xfffe
	s_or_b32 exec_lo, exec_lo, s0
	s_wait_dscnt 0x4
	v_lshrrev_b32_e32 v143, 16, v47
	s_wait_dscnt 0x3
	v_lshrrev_b32_e32 v144, 16, v45
	v_lshrrev_b32_e32 v146, 16, v48
	v_mul_f16_e64 v154, v95, v47
	v_lshrrev_b32_e32 v147, 16, v46
	v_mul_f16_e64 v152, v95, v143
	v_mul_f16_e64 v156, v94, v144
	s_wait_dscnt 0x1
	v_lshrrev_b32_e32 v149, 16, v43
	v_fma_f16 v143, v17, v143, -v154
	v_mul_f16_e64 v154, v99, v146
	s_wait_dscnt 0x0
	v_lshrrev_b32_e32 v150, 16, v41
	v_fmac_f16_e64 v152, v17, v47
	v_mul_f16_e32 v47, v94, v45
	v_fmac_f16_e64 v156, v18, v45
	v_mul_f16_e32 v45, v99, v48
	v_mul_f16_e64 v99, v98, v147
	v_fmac_f16_e64 v154, v93, v48
	v_mul_f16_e32 v48, v98, v46
	v_lshrrev_b32_e32 v153, 16, v44
	v_lshrrev_b32_e32 v155, 16, v42
	v_fma_f16 v45, v93, v146, -v45
	v_mul_f16_e64 v93, v95, v149
	v_fmac_f16_e32 v99, v97, v46
	v_fma_f16 v48, v97, v147, -v48
	v_mul_f16_e64 v97, v94, v150
	v_mul_f16_e32 v46, v95, v43
	v_fmac_f16_e32 v93, v17, v43
	v_mul_f16_e32 v43, v94, v41
	v_mul_f16_e64 v98, v87, v153
	v_fmac_f16_e32 v97, v18, v41
	v_mul_f16_e32 v41, v87, v44
	v_mul_f16_e64 v87, v91, v155
	v_lshrrev_b32_e32 v142, 16, v39
	v_fmac_f16_e32 v98, v84, v44
	v_mul_f16_e32 v44, v91, v42
	v_fma_f16 v41, v84, v153, -v41
	v_mul_f16_e32 v84, v95, v82
	v_fmac_f16_e32 v87, v85, v42
	v_mul_f16_e32 v42, v95, v86
	v_fma_f16 v47, v18, v144, -v47
	v_fma_f16 v46, v17, v149, -v46
	;; [unrolled: 1-line block ×3, first 2 shown]
	v_mul_f16_e64 v85, v94, v141
	v_fmac_f16_e32 v84, v17, v86
	v_mul_f16_e64 v86, v94, v140
	v_fma_f16 v17, v17, v82, -v42
	v_add_f16_e64 v42, v152, v156
	v_add_f16_e64 v82, v39, v152
	v_fma_f16 v43, v18, v150, -v43
	v_fmac_f16_e64 v85, v18, v140
	v_fma_f16 v18, v18, v141, -v86
	v_add_f16_e64 v86, v143, v47
	v_fma_f16 v39, -0.5, v42, v39
	v_sub_f16_e64 v42, v143, v47
	v_add_f16_e64 v91, v82, v156
	v_add_f16_e64 v82, v142, v143
	v_fmac_f16_e64 v142, -0.5, v86
	v_sub_f16_e64 v86, v152, v156
	v_fmamk_f16 v94, v42, 0xbaee, v39
	v_fmac_f16_e32 v39, 0x3aee, v42
	v_add_f16_e32 v42, v82, v47
	v_add_f16_e64 v47, v154, v99
	v_lshrrev_b32_e32 v145, 16, v40
	v_fma_f16 v95, 0x3aee, v86, v142
	v_add_f16_e64 v82, v40, v154
	v_fmac_f16_e64 v142, 0xbaee, v86
	v_add_f16_e32 v86, v45, v48
	v_fmac_f16_e32 v40, -0.5, v47
	v_sub_f16_e32 v47, v45, v48
	v_lshrrev_b32_e32 v148, 16, v37
	v_add_f16_e64 v140, v82, v99
	v_add_f16_e64 v45, v145, v45
	v_fmac_f16_e64 v145, -0.5, v86
	v_sub_f16_e64 v82, v154, v99
	v_fmamk_f16 v86, v47, 0xbaee, v40
	v_fmac_f16_e32 v40, 0x3aee, v47
	v_add_f16_e32 v47, v93, v97
	v_add_f16_e32 v45, v45, v48
	v_fma_f16 v99, 0x3aee, v82, v145
	v_add_f16_e32 v48, v37, v93
	v_fmac_f16_e64 v145, 0xbaee, v82
	v_add_f16_e32 v82, v46, v43
	v_fma_f16 v37, -0.5, v47, v37
	v_sub_f16_e32 v47, v46, v43
	v_add_f16_e64 v46, v148, v46
	v_lshrrev_b32_e32 v151, 16, v38
	v_add_f16_e64 v141, v48, v97
	v_fmac_f16_e64 v148, -0.5, v82
	v_sub_f16_e32 v48, v93, v97
	v_add_f16_e32 v43, v46, v43
	v_add_f16_e32 v46, v98, v87
	v_fmamk_f16 v93, v47, 0xbaee, v37
	v_fmac_f16_e32 v37, 0x3aee, v47
	v_fma_f16 v97, 0x3aee, v48, v148
	v_add_f16_e32 v47, v38, v98
	v_fmac_f16_e64 v148, 0xbaee, v48
	v_add_f16_e32 v48, v41, v44
	v_fmac_f16_e32 v38, -0.5, v46
	v_sub_f16_e32 v46, v41, v44
	v_add_f16_e64 v41, v151, v41
	v_add_f16_e64 v143, v47, v87
	v_fmac_f16_e64 v151, -0.5, v48
	v_sub_f16_e32 v47, v98, v87
	v_fmamk_f16 v87, v46, 0xbaee, v38
	v_add_f16_e32 v41, v41, v44
	v_add_f16_e32 v44, v85, v84
	v_fmac_f16_e32 v38, 0x3aee, v46
	v_fma_f16 v46, 0x3aee, v47, v151
	v_fmac_f16_e64 v151, 0xbaee, v47
	v_add_f16_e32 v47, v18, v17
	v_add_f16_e32 v48, v80, v84
	v_fmac_f16_e32 v80, -0.5, v44
	v_sub_f16_e32 v44, v17, v18
	v_add_f16_e32 v17, v17, v81
	v_fmac_f16_e32 v81, -0.5, v47
	v_sub_f16_e32 v98, v84, v85
	v_add_f16_e32 v47, v85, v48
	v_pack_b32_f16 v39, v39, v142
	v_add_f16_e32 v48, v18, v17
	v_pack_b32_f16 v17, v91, v42
	v_pack_b32_f16 v18, v94, v95
	v_fmamk_f16 v82, v44, 0xbaee, v80
	v_fmac_f16_e32 v80, 0x3aee, v44
	v_pack_b32_f16 v42, v140, v45
	v_pack_b32_f16 v44, v86, v99
	v_fmamk_f16 v84, v98, 0x3aee, v81
	v_fmac_f16_e32 v81, 0xbaee, v98
	global_wb scope:SCOPE_SE
	s_barrier_signal -1
	s_barrier_wait -1
	global_inv scope:SCOPE_SE
	ds_store_2addr_b32 v92, v17, v18 offset1:4
	ds_store_b32 v92, v39 offset:32
	ds_store_2addr_b32 v90, v42, v44 offset1:4
	v_pack_b32_f16 v17, v40, v145
	v_pack_b32_f16 v18, v141, v43
	;; [unrolled: 1-line block ×7, first 2 shown]
	ds_store_b32 v90, v17 offset:32
	ds_store_2addr_b32 v89, v18, v39 offset1:4
	ds_store_b32 v89, v37 offset:32
	ds_store_2addr_b32 v88, v40, v41 offset1:4
	ds_store_b32 v88, v38 offset:32
	s_and_saveexec_b32 s0, vcc_lo
	s_cbranch_execz .LBB0_13
; %bb.12:
	v_mul_u32_u24_e32 v17, 12, v83
	v_perm_b32 v18, v48, v47, 0x5040100
	v_perm_b32 v37, v84, v82, 0x5040100
	v_perm_b32 v38, v81, v80, 0x5040100
	s_delay_alu instid0(VALU_DEP_4) | instskip(NEXT) | instid1(VALU_DEP_1)
	v_or_b32_e32 v17, v17, v79
	v_lshlrev_b32_e32 v17, 2, v17
	ds_store_2addr_b32 v17, v18, v37 offset1:4
	ds_store_b32 v17, v38 offset:32
.LBB0_13:
	s_wait_alu 0xfffe
	s_or_b32 exec_lo, exec_lo, s0
	v_add_nc_u32_e32 v37, 0x800, v75
	v_add_nc_u32_e32 v38, 0x1200, v75
	;; [unrolled: 1-line block ×5, first 2 shown]
	global_wb scope:SCOPE_SE
	s_wait_dscnt 0x0
	s_barrier_signal -1
	s_barrier_wait -1
	global_inv scope:SCOPE_SE
	ds_load_2addr_b32 v[17:18], v75 offset1:126
	ds_load_2addr_b32 v[45:46], v37 offset0:76 offset1:202
	ds_load_2addr_b32 v[43:44], v38 offset0:24 offset1:150
	;; [unrolled: 1-line block ×5, first 2 shown]
	s_and_saveexec_b32 s0, vcc_lo
	s_cbranch_execz .LBB0_15
; %bb.14:
	ds_load_b32 v47, v75 offset:2016
	ds_load_b32 v82, v75 offset:4368
	;; [unrolled: 1-line block ×3, first 2 shown]
	s_wait_dscnt 0x2
	v_lshrrev_b32_e32 v48, 16, v47
	s_wait_dscnt 0x1
	v_lshrrev_b32_e32 v84, 16, v82
	;; [unrolled: 2-line block ×3, first 2 shown]
.LBB0_15:
	s_wait_alu 0xfffe
	s_or_b32 exec_lo, exec_lo, s0
	s_wait_dscnt 0x4
	v_lshrrev_b32_e32 v83, 16, v45
	s_wait_dscnt 0x3
	v_lshrrev_b32_e32 v85, 16, v43
	v_lshrrev_b32_e32 v87, 16, v46
	v_mul_f16_e32 v95, v115, v45
	v_lshrrev_b32_e32 v88, 16, v44
	v_mul_f16_e32 v93, v115, v83
	v_mul_f16_e32 v98, v114, v85
	s_wait_dscnt 0x1
	v_lshrrev_b32_e32 v90, 16, v41
	s_wait_dscnt 0x0
	v_lshrrev_b32_e32 v91, 16, v39
	v_lshrrev_b32_e32 v94, 16, v42
	v_fmac_f16_e32 v93, v27, v45
	v_mul_f16_e32 v45, v114, v43
	v_fma_f16 v27, v27, v83, -v95
	v_mul_f16_e32 v83, v113, v87
	v_fmac_f16_e32 v98, v28, v43
	v_mul_f16_e32 v43, v113, v46
	v_fma_f16 v28, v28, v85, -v45
	v_mul_f16_e32 v45, v111, v88
	;; [unrolled: 4-line block ×4, first 2 shown]
	v_lshrrev_b32_e32 v97, 16, v40
	v_fmac_f16_e32 v43, v23, v41
	v_mul_f16_e32 v41, v110, v39
	v_fma_f16 v23, v23, v90, -v44
	v_mul_f16_e32 v44, v109, v94
	v_fmac_f16_e32 v46, v24, v39
	v_mul_f16_e32 v39, v109, v42
	v_fma_f16 v24, v24, v91, -v41
	v_mul_f16_e32 v41, v108, v97
	v_fmac_f16_e32 v44, v21, v42
	v_mul_f16_e32 v42, v108, v40
	v_lshrrev_b32_e32 v79, 16, v17
	v_fma_f16 v21, v21, v94, -v39
	v_add_f16_e32 v39, v93, v98
	v_fmac_f16_e32 v41, v22, v40
	v_fma_f16 v22, v22, v97, -v42
	v_add_f16_e32 v42, v27, v28
	v_add_f16_e32 v40, v17, v93
	v_fma_f16 v17, -0.5, v39, v17
	v_sub_f16_e32 v39, v27, v28
	v_add_f16_e32 v27, v79, v27
	v_fmac_f16_e32 v79, -0.5, v42
	v_sub_f16_e32 v42, v93, v98
	v_lshrrev_b32_e32 v86, 16, v18
	v_fmamk_f16 v85, v39, 0xbaee, v17
	v_add_f16_e32 v27, v27, v28
	v_add_f16_e32 v28, v83, v45
	v_fmac_f16_e32 v17, 0x3aee, v39
	v_fmamk_f16 v39, v42, 0x3aee, v79
	v_fmac_f16_e32 v79, 0xbaee, v42
	v_add_f16_e32 v42, v25, v26
	v_add_f16_e32 v87, v18, v83
	v_fmac_f16_e32 v18, -0.5, v28
	v_sub_f16_e32 v28, v25, v26
	v_add_f16_e32 v25, v86, v25
	v_fmac_f16_e32 v86, -0.5, v42
	v_sub_f16_e32 v42, v83, v45
	v_lshrrev_b32_e32 v89, 16, v37
	v_add_f16_e32 v87, v87, v45
	v_add_f16_e32 v25, v25, v26
	;; [unrolled: 1-line block ×3, first 2 shown]
	v_fmamk_f16 v45, v28, 0xbaee, v18
	v_fmac_f16_e32 v18, 0x3aee, v28
	v_fmamk_f16 v28, v42, 0x3aee, v86
	v_fmac_f16_e32 v86, 0xbaee, v42
	v_add_f16_e32 v42, v23, v24
	v_add_f16_e32 v83, v37, v43
	v_fma_f16 v26, -0.5, v26, v37
	v_sub_f16_e32 v37, v23, v24
	v_add_f16_e32 v23, v89, v23
	v_fmac_f16_e32 v89, -0.5, v42
	v_sub_f16_e32 v42, v43, v46
	v_lshrrev_b32_e32 v92, 16, v38
	v_fmamk_f16 v43, v37, 0xbaee, v26
	v_add_f16_e32 v23, v23, v24
	v_add_f16_e32 v24, v44, v41
	v_fmac_f16_e32 v26, 0x3aee, v37
	v_fmamk_f16 v37, v42, 0x3aee, v89
	v_fmac_f16_e32 v89, 0xbaee, v42
	v_add_f16_e32 v42, v21, v22
	v_add_f16_e32 v40, v40, v98
	;; [unrolled: 1-line block ×4, first 2 shown]
	v_fmac_f16_e32 v38, -0.5, v24
	v_sub_f16_e32 v24, v21, v22
	v_add_f16_e32 v21, v92, v21
	v_fmac_f16_e32 v92, -0.5, v42
	v_sub_f16_e32 v42, v44, v41
	v_pack_b32_f16 v17, v17, v79
	v_fmamk_f16 v44, v24, 0xbaee, v38
	v_fmac_f16_e32 v38, 0x3aee, v24
	v_pack_b32_f16 v24, v40, v27
	v_pack_b32_f16 v27, v85, v39
	;; [unrolled: 1-line block ×4, first 2 shown]
	v_add_f16_e32 v41, v46, v41
	v_add_f16_e32 v21, v21, v22
	v_fmamk_f16 v22, v42, 0x3aee, v92
	v_fmac_f16_e32 v92, 0xbaee, v42
	global_wb scope:SCOPE_SE
	s_barrier_signal -1
	s_barrier_wait -1
	global_inv scope:SCOPE_SE
	ds_store_2addr_b32 v105, v24, v27 offset1:12
	ds_store_b32 v105, v17 offset:96
	ds_store_2addr_b32 v102, v25, v28 offset1:12
	v_pack_b32_f16 v17, v18, v86
	v_pack_b32_f16 v18, v83, v23
	;; [unrolled: 1-line block ×7, first 2 shown]
	ds_store_b32 v102, v17 offset:96
	ds_store_2addr_b32 v101, v18, v23 offset1:12
	ds_store_b32 v101, v24 offset:96
	ds_store_2addr_b32 v100, v21, v22 offset1:12
	ds_store_b32 v100, v25 offset:96
	s_and_saveexec_b32 s0, vcc_lo
	s_cbranch_execz .LBB0_17
; %bb.16:
	v_mul_f16_e32 v17, v104, v84
	v_mul_f16_e32 v18, v103, v81
	;; [unrolled: 1-line block ×4, first 2 shown]
	v_and_b32_e32 v25, 0xffff, v96
	v_fmac_f16_e32 v17, v19, v82
	v_fmac_f16_e32 v18, v20, v80
	v_fma_f16 v19, v19, v84, -v21
	v_fma_f16 v20, v20, v81, -v22
	s_delay_alu instid0(VALU_DEP_3) | instskip(SKIP_1) | instid1(VALU_DEP_3)
	v_add_f16_e32 v23, v18, v17
	v_sub_f16_e32 v21, v17, v18
	v_add_f16_e32 v22, v20, v19
	v_sub_f16_e32 v24, v19, v20
	v_add_f16_e32 v19, v19, v48
	v_add_f16_e32 v17, v47, v17
	v_fma_f16 v23, -0.5, v23, v47
	v_fma_f16 v22, -0.5, v22, v48
	s_delay_alu instid0(VALU_DEP_4) | instskip(NEXT) | instid1(VALU_DEP_4)
	v_add_f16_e32 v19, v20, v19
	v_add_f16_e32 v17, v18, v17
	s_delay_alu instid0(VALU_DEP_4) | instskip(NEXT) | instid1(VALU_DEP_4)
	v_fmamk_f16 v20, v24, 0xbaee, v23
	v_fmamk_f16 v18, v21, 0x3aee, v22
	v_fmac_f16_e32 v22, 0xbaee, v21
	v_fmac_f16_e32 v23, 0x3aee, v24
	v_lshlrev_b32_e32 v21, 2, v25
	v_pack_b32_f16 v17, v17, v19
	v_pack_b32_f16 v18, v20, v18
	s_delay_alu instid0(VALU_DEP_4)
	v_pack_b32_f16 v19, v23, v22
	ds_store_2addr_b32 v21, v17, v18 offset1:12
	ds_store_b32 v21, v19 offset:96
.LBB0_17:
	s_wait_alu 0xfffe
	s_or_b32 exec_lo, exec_lo, s0
	v_add_nc_u32_e32 v20, 0x200, v75
	v_add_nc_u32_e32 v18, 0x600, v75
	global_wb scope:SCOPE_SE
	s_wait_dscnt 0x0
	s_barrier_signal -1
	s_barrier_wait -1
	global_inv scope:SCOPE_SE
	ds_load_2addr_b32 v[23:24], v75 offset1:126
	ds_load_2addr_b32 v[25:26], v20 offset0:124 offset1:250
	v_add_nc_u32_e32 v22, 0xa00, v75
	v_add_nc_u32_e32 v21, 0xe00, v75
	;; [unrolled: 1-line block ×4, first 2 shown]
	ds_load_2addr_b32 v[27:28], v18 offset0:120 offset1:246
	ds_load_2addr_b32 v[37:38], v22 offset0:116 offset1:242
	;; [unrolled: 1-line block ×5, first 2 shown]
	global_wb scope:SCOPE_SE
	s_wait_dscnt 0x0
	s_barrier_signal -1
	s_barrier_wait -1
	global_inv scope:SCOPE_SE
	s_mov_b32 s8, 0x5bb804a5
	s_mov_b32 s9, 0x3f429372
	v_lshrrev_b32_e32 v45, 16, v23
	v_lshrrev_b32_e32 v47, 16, v25
	;; [unrolled: 1-line block ×6, first 2 shown]
	v_mul_f16_e64 v88, v137, v47
	v_mul_f16_e64 v89, v137, v25
	;; [unrolled: 1-line block ×4, first 2 shown]
	v_lshrrev_b32_e32 v82, 16, v43
	v_lshrrev_b32_e32 v83, 16, v26
	v_fmac_f16_e32 v88, v4, v25
	v_fma_f16 v4, v4, v47, -v89
	v_fmac_f16_e32 v90, v5, v27
	v_fma_f16 v5, v5, v48, -v91
	v_mul_f16_e64 v25, v133, v79
	v_mul_f16_e64 v27, v133, v37
	;; [unrolled: 1-line block ×5, first 2 shown]
	v_lshrrev_b32_e32 v84, 16, v28
	v_lshrrev_b32_e32 v85, 16, v38
	;; [unrolled: 1-line block ×3, first 2 shown]
	v_fmac_f16_e32 v25, v6, v37
	v_fma_f16 v6, v6, v79, -v27
	v_fmac_f16_e32 v47, v7, v39
	v_fma_f16 v7, v7, v80, -v48
	v_fmac_f16_e32 v89, v31, v41
	v_mul_f16_e64 v27, v128, v41
	v_mul_f16_e32 v37, v127, v82
	v_mul_f16_e32 v39, v127, v43
	;; [unrolled: 1-line block ×4, first 2 shown]
	v_lshrrev_b32_e32 v87, 16, v42
	v_lshrrev_b32_e32 v92, 16, v44
	v_fma_f16 v27, v31, v81, -v27
	v_fmac_f16_e32 v37, v32, v43
	v_fma_f16 v31, v32, v82, -v39
	v_fmac_f16_e32 v41, v0, v26
	v_fma_f16 v0, v0, v83, -v48
	v_mul_f16_e32 v26, v123, v84
	v_mul_f16_e32 v32, v123, v28
	;; [unrolled: 1-line block ×5, first 2 shown]
	v_fmac_f16_e32 v26, v1, v28
	v_fma_f16 v1, v1, v84, -v32
	v_fmac_f16_e32 v39, v2, v38
	v_fma_f16 v2, v2, v85, -v43
	v_fmac_f16_e32 v48, v3, v40
	v_mul_f16_e32 v28, v118, v40
	v_mul_f16_e32 v32, v117, v87
	;; [unrolled: 1-line block ×5, first 2 shown]
	v_fma_f16 v3, v3, v86, -v28
	v_fmac_f16_e32 v32, v29, v42
	v_fma_f16 v28, v29, v87, -v38
	v_fmac_f16_e32 v40, v30, v44
	v_fma_f16 v29, v30, v92, -v43
	v_add_f16_e32 v30, v88, v37
	v_add_f16_e32 v38, v4, v31
	v_sub_f16_e32 v4, v4, v31
	v_add_f16_e32 v31, v90, v89
	v_add_f16_e32 v42, v5, v27
	v_sub_f16_e32 v37, v88, v37
	v_sub_f16_e32 v43, v90, v89
	;; [unrolled: 1-line block ×3, first 2 shown]
	v_add_f16_e32 v27, v25, v47
	v_add_f16_e32 v44, v6, v7
	v_sub_f16_e32 v25, v47, v25
	v_sub_f16_e32 v6, v7, v6
	v_add_f16_e32 v7, v31, v30
	v_add_f16_e32 v47, v42, v38
	v_sub_f16_e32 v79, v31, v30
	v_sub_f16_e32 v80, v42, v38
	;; [unrolled: 1-line block ×6, first 2 shown]
	v_add_f16_e32 v81, v25, v43
	v_add_f16_e32 v82, v6, v5
	v_sub_f16_e32 v83, v25, v43
	v_sub_f16_e32 v84, v6, v5
	v_sub_f16_e32 v43, v43, v37
	v_add_f16_e32 v7, v27, v7
	v_add_f16_e32 v27, v44, v47
	v_sub_f16_e32 v5, v5, v4
	v_sub_f16_e32 v25, v37, v25
	;; [unrolled: 1-line block ×3, first 2 shown]
	v_add_f16_e32 v37, v81, v37
	v_add_f16_e32 v4, v82, v4
	v_add_f16_e32 v23, v23, v7
	v_add_f16_e32 v44, v45, v27
	v_mul_f16_e32 v30, 0x3a52, v30
	v_mul_f16_e32 v38, 0x3a52, v38
	;; [unrolled: 1-line block ×8, first 2 shown]
	v_fmamk_f16 v7, v7, 0xbcab, v23
	v_fmamk_f16 v27, v27, 0xbcab, v44
	;; [unrolled: 1-line block ×4, first 2 shown]
	v_fma_f16 v45, v79, 0x39e0, -v45
	v_fma_f16 v47, v80, 0x39e0, -v47
	;; [unrolled: 1-line block ×4, first 2 shown]
	v_fmamk_f16 v79, v25, 0xb574, v81
	v_fmamk_f16 v80, v6, 0xb574, v82
	v_fma_f16 v25, v25, 0x3574, -v83
	v_fma_f16 v6, v6, 0x3574, -v84
	;; [unrolled: 1-line block ×4, first 2 shown]
	v_add_f16_e32 v31, v31, v7
	v_add_f16_e32 v42, v42, v27
	;; [unrolled: 1-line block ×6, first 2 shown]
	v_fmac_f16_e32 v79, 0xb70e, v37
	v_fmac_f16_e32 v80, 0xb70e, v4
	;; [unrolled: 1-line block ×6, first 2 shown]
	v_add_f16_e32 v4, v80, v31
	v_sub_f16_e32 v30, v42, v79
	v_add_f16_e32 v37, v6, v7
	v_sub_f16_e32 v38, v27, v25
	v_sub_f16_e32 v6, v7, v6
	v_add_f16_e32 v7, v25, v27
	v_sub_f16_e32 v25, v31, v80
	v_add_f16_e32 v27, v79, v42
	v_add_f16_e32 v31, v41, v40
	;; [unrolled: 1-line block ×3, first 2 shown]
	v_sub_f16_e32 v40, v41, v40
	v_sub_f16_e32 v0, v0, v29
	v_add_f16_e32 v29, v26, v32
	v_add_f16_e32 v41, v1, v28
	v_sub_f16_e32 v81, v45, v5
	v_add_f16_e32 v5, v5, v45
	v_sub_f16_e32 v26, v26, v32
	v_sub_f16_e32 v1, v1, v28
	v_add_f16_e32 v28, v39, v48
	v_add_f16_e32 v32, v2, v3
	v_sub_f16_e32 v39, v48, v39
	v_sub_f16_e32 v2, v3, v2
	v_add_f16_e32 v3, v29, v31
	v_add_f16_e32 v45, v41, v42
	v_lshrrev_b32_e32 v46, 16, v24
	v_add_f16_e32 v82, v43, v47
	v_sub_f16_e32 v43, v47, v43
	v_sub_f16_e32 v47, v29, v31
	;; [unrolled: 1-line block ×7, first 2 shown]
	v_add_f16_e32 v79, v39, v26
	v_add_f16_e32 v80, v2, v1
	v_sub_f16_e32 v83, v39, v26
	v_sub_f16_e32 v84, v2, v1
	v_add_f16_e32 v3, v28, v3
	v_add_f16_e32 v28, v32, v45
	v_sub_f16_e32 v26, v26, v40
	v_sub_f16_e32 v1, v1, v0
	;; [unrolled: 1-line block ×4, first 2 shown]
	v_add_f16_e32 v32, v79, v40
	v_add_f16_e32 v0, v80, v0
	;; [unrolled: 1-line block ×4, first 2 shown]
	v_mul_f16_e32 v31, 0x3a52, v31
	v_mul_f16_e32 v42, 0x3a52, v42
	;; [unrolled: 1-line block ×8, first 2 shown]
	v_fmamk_f16 v3, v3, 0xbcab, v24
	v_fmamk_f16 v28, v28, 0xbcab, v40
	;; [unrolled: 1-line block ×4, first 2 shown]
	v_fma_f16 v45, v47, 0x39e0, -v45
	v_fma_f16 v46, v48, 0x39e0, -v46
	;; [unrolled: 1-line block ×4, first 2 shown]
	v_fmamk_f16 v47, v39, 0xb574, v79
	v_fmamk_f16 v48, v2, 0xb574, v80
	v_fma_f16 v26, v26, 0xbb00, -v79
	v_fma_f16 v1, v1, 0xbb00, -v80
	v_fma_f16 v39, v39, 0x3574, -v83
	v_fma_f16 v2, v2, 0x3574, -v84
	v_add_f16_e32 v29, v29, v3
	v_add_f16_e32 v41, v41, v28
	v_fmac_f16_e32 v47, 0xb70e, v32
	v_fmac_f16_e32 v48, 0xb70e, v0
	v_add_f16_e32 v45, v45, v3
	v_add_f16_e32 v46, v46, v28
	v_add_f16_e32 v3, v31, v3
	v_add_f16_e32 v28, v42, v28
	v_fmac_f16_e32 v26, 0xb70e, v32
	v_fmac_f16_e32 v2, 0xb70e, v0
	;; [unrolled: 1-line block ×4, first 2 shown]
	v_pack_b32_f16 v23, v23, v44
	v_pack_b32_f16 v4, v4, v30
	v_add_f16_e32 v0, v48, v29
	v_sub_f16_e32 v31, v41, v47
	v_pack_b32_f16 v30, v37, v38
	v_pack_b32_f16 v37, v81, v82
	v_add_f16_e32 v32, v2, v3
	v_sub_f16_e32 v42, v28, v39
	v_sub_f16_e32 v79, v45, v1
	v_add_f16_e32 v80, v26, v46
	v_pack_b32_f16 v5, v5, v43
	v_pack_b32_f16 v6, v6, v7
	v_add_f16_e32 v1, v1, v45
	v_sub_f16_e32 v26, v46, v26
	v_sub_f16_e32 v2, v3, v2
	v_add_f16_e32 v3, v39, v28
	v_sub_f16_e32 v28, v29, v48
	v_add_f16_e32 v29, v47, v41
	ds_store_2addr_b32 v107, v23, v4 offset1:36
	ds_store_2addr_b32 v107, v30, v37 offset0:72 offset1:108
	ds_store_2addr_b32 v107, v5, v6 offset0:144 offset1:180
	v_pack_b32_f16 v4, v25, v27
	v_pack_b32_f16 v5, v24, v40
	;; [unrolled: 1-line block ×8, first 2 shown]
	ds_store_b32 v107, v4 offset:864
	ds_store_2addr_b32 v106, v5, v0 offset1:36
	ds_store_2addr_b32 v106, v6, v7 offset0:72 offset1:108
	ds_store_2addr_b32 v106, v1, v2 offset0:144 offset1:180
	ds_store_b32 v106, v3 offset:864
	global_wb scope:SCOPE_SE
	s_wait_dscnt 0x0
	s_barrier_signal -1
	s_barrier_wait -1
	global_inv scope:SCOPE_SE
	ds_load_2addr_b32 v[0:1], v75 offset1:126
	ds_load_2addr_b32 v[2:3], v20 offset0:124 offset1:250
	ds_load_2addr_b32 v[4:5], v18 offset0:120 offset1:246
	;; [unrolled: 1-line block ×6, first 2 shown]
	s_wait_dscnt 0x6
	v_lshrrev_b32_e32 v29, 16, v0
	s_wait_dscnt 0x5
	v_lshrrev_b32_e32 v30, 16, v2
	;; [unrolled: 2-line block ×6, first 2 shown]
	v_mul_f16_e64 v46, v139, v30
	v_mul_f16_e64 v47, v139, v2
	;; [unrolled: 1-line block ×4, first 2 shown]
	s_wait_dscnt 0x0
	v_lshrrev_b32_e32 v39, 16, v27
	v_lshrrev_b32_e32 v41, 16, v3
	v_fmac_f16_e32 v46, v12, v2
	v_fma_f16 v2, v12, v30, -v47
	v_fmac_f16_e32 v48, v13, v4
	v_fma_f16 v4, v13, v31, -v79
	v_mul_f16_e64 v12, v136, v32
	v_mul_f16_e64 v13, v136, v6
	;; [unrolled: 1-line block ×5, first 2 shown]
	v_lshrrev_b32_e32 v42, 16, v5
	v_lshrrev_b32_e32 v43, 16, v7
	;; [unrolled: 1-line block ×3, first 2 shown]
	v_fmac_f16_e32 v12, v14, v6
	v_fma_f16 v6, v14, v32, -v13
	v_fmac_f16_e32 v30, v15, v23
	v_fma_f16 v13, v15, v37, -v31
	v_fmac_f16_e32 v47, v33, v25
	v_mul_f16_e64 v14, v132, v25
	v_mul_f16_e64 v15, v130, v39
	;; [unrolled: 1-line block ×4, first 2 shown]
	v_lshrrev_b32_e32 v45, 16, v26
	v_lshrrev_b32_e32 v80, 16, v28
	v_mul_f16_e64 v23, v130, v27
	v_fma_f16 v14, v33, v38, -v14
	v_fmac_f16_e32 v15, v34, v27
	v_fmac_f16_e32 v25, v8, v3
	v_fma_f16 v3, v8, v41, -v31
	v_mul_f16_e32 v8, v126, v42
	v_mul_f16_e32 v27, v126, v5
	;; [unrolled: 1-line block ×5, first 2 shown]
	v_fma_f16 v23, v34, v39, -v23
	v_fmac_f16_e32 v8, v9, v5
	v_fma_f16 v5, v9, v42, -v27
	v_fmac_f16_e32 v31, v10, v7
	;; [unrolled: 2-line block ×3, first 2 shown]
	v_mul_f16_e32 v9, v122, v24
	v_mul_f16_e32 v10, v120, v45
	;; [unrolled: 1-line block ×5, first 2 shown]
	v_fma_f16 v9, v11, v44, -v9
	v_fmac_f16_e32 v10, v35, v26
	v_fma_f16 v11, v35, v45, -v24
	v_fmac_f16_e32 v27, v36, v28
	v_fma_f16 v24, v36, v80, -v32
	v_add_f16_e32 v26, v46, v15
	v_add_f16_e32 v28, v2, v23
	v_sub_f16_e32 v2, v2, v23
	v_add_f16_e32 v23, v48, v47
	v_add_f16_e32 v32, v4, v14
	v_sub_f16_e32 v15, v46, v15
	v_sub_f16_e32 v34, v48, v47
	;; [unrolled: 1-line block ×3, first 2 shown]
	v_add_f16_e32 v14, v12, v30
	v_add_f16_e32 v35, v6, v13
	v_sub_f16_e32 v12, v30, v12
	v_sub_f16_e32 v6, v13, v6
	v_add_f16_e32 v13, v23, v26
	v_add_f16_e32 v30, v32, v28
	v_sub_f16_e32 v36, v23, v26
	v_sub_f16_e32 v37, v32, v28
	;; [unrolled: 1-line block ×6, first 2 shown]
	v_add_f16_e32 v38, v12, v34
	v_add_f16_e32 v39, v6, v4
	v_sub_f16_e32 v41, v12, v34
	v_sub_f16_e32 v42, v6, v4
	;; [unrolled: 1-line block ×3, first 2 shown]
	v_add_f16_e32 v13, v14, v13
	v_add_f16_e32 v14, v35, v30
	v_sub_f16_e32 v4, v4, v2
	v_sub_f16_e32 v12, v15, v12
	;; [unrolled: 1-line block ×3, first 2 shown]
	v_add_f16_e32 v15, v38, v15
	v_add_f16_e32 v2, v39, v2
	v_add_f16_e32 v0, v0, v13
	v_add_f16_e32 v29, v29, v14
	v_mul_f16_e32 v26, 0x3a52, v26
	v_mul_f16_e32 v28, 0x3a52, v28
	;; [unrolled: 1-line block ×8, first 2 shown]
	v_fmamk_f16 v13, v13, 0xbcab, v0
	v_fmamk_f16 v14, v14, 0xbcab, v29
	;; [unrolled: 1-line block ×4, first 2 shown]
	v_fma_f16 v30, v36, 0x39e0, -v30
	v_fma_f16 v35, v37, 0x39e0, -v35
	;; [unrolled: 1-line block ×4, first 2 shown]
	v_fmamk_f16 v36, v12, 0xb574, v38
	v_fmamk_f16 v37, v6, 0xb574, v39
	v_fma_f16 v12, v12, 0x3574, -v41
	v_fma_f16 v6, v6, 0x3574, -v42
	;; [unrolled: 1-line block ×4, first 2 shown]
	v_add_f16_e32 v23, v23, v13
	v_add_f16_e32 v32, v32, v14
	;; [unrolled: 1-line block ×6, first 2 shown]
	v_fmac_f16_e32 v36, 0xb70e, v15
	v_fmac_f16_e32 v37, 0xb70e, v2
	;; [unrolled: 1-line block ×6, first 2 shown]
	v_add_f16_e32 v2, v37, v23
	v_sub_f16_e32 v15, v32, v36
	v_add_f16_e32 v26, v6, v13
	v_sub_f16_e32 v28, v14, v12
	v_sub_f16_e32 v6, v13, v6
	v_add_f16_e32 v12, v12, v14
	v_sub_f16_e32 v13, v23, v37
	v_add_f16_e32 v14, v36, v32
	v_add_f16_e32 v23, v25, v27
	v_add_f16_e32 v32, v3, v24
	v_sub_f16_e32 v25, v25, v27
	v_sub_f16_e32 v3, v3, v24
	v_add_f16_e32 v24, v8, v10
	v_add_f16_e32 v27, v5, v11
	v_sub_f16_e32 v8, v8, v10
	v_sub_f16_e32 v5, v5, v11
	v_add_f16_e32 v10, v31, v33
	v_add_f16_e32 v11, v7, v9
	;; [unrolled: 4-line block ×3, first 2 shown]
	v_lshrrev_b32_e32 v40, 16, v1
	v_sub_f16_e32 v38, v30, v4
	v_add_f16_e32 v39, v34, v35
	v_add_f16_e32 v4, v4, v30
	v_sub_f16_e32 v30, v35, v34
	v_sub_f16_e32 v34, v24, v23
	;; [unrolled: 1-line block ×7, first 2 shown]
	v_add_f16_e32 v36, v31, v8
	v_add_f16_e32 v37, v7, v5
	v_sub_f16_e32 v41, v31, v8
	v_sub_f16_e32 v42, v7, v5
	v_add_f16_e32 v9, v10, v9
	v_add_f16_e32 v10, v11, v33
	v_sub_f16_e32 v8, v8, v25
	v_sub_f16_e32 v5, v5, v3
	;; [unrolled: 1-line block ×4, first 2 shown]
	v_add_f16_e32 v11, v36, v25
	v_add_f16_e32 v3, v37, v3
	;; [unrolled: 1-line block ×4, first 2 shown]
	v_mul_f16_e32 v23, 0x3a52, v23
	v_mul_f16_e32 v32, 0x3a52, v32
	;; [unrolled: 1-line block ×8, first 2 shown]
	v_fmamk_f16 v9, v9, 0xbcab, v1
	v_fmamk_f16 v10, v10, 0xbcab, v25
	;; [unrolled: 1-line block ×4, first 2 shown]
	v_fma_f16 v33, v34, 0x39e0, -v33
	v_fma_f16 v36, v35, 0x39e0, -v36
	v_fma_f16 v23, v34, 0xb9e0, -v23
	v_fma_f16 v32, v35, 0xb9e0, -v32
	v_fmamk_f16 v34, v31, 0xb574, v37
	v_fmamk_f16 v35, v7, 0xb574, v40
	v_fma_f16 v31, v31, 0x3574, -v41
	v_fma_f16 v7, v7, 0x3574, -v42
	v_fma_f16 v8, v8, 0xbb00, -v37
	v_fma_f16 v5, v5, 0xbb00, -v40
	v_add_f16_e32 v24, v24, v9
	v_add_f16_e32 v27, v27, v10
	v_fmac_f16_e32 v34, 0xb70e, v11
	v_fmac_f16_e32 v35, 0xb70e, v3
	v_add_f16_e32 v33, v33, v9
	v_add_f16_e32 v36, v36, v10
	;; [unrolled: 1-line block ×4, first 2 shown]
	v_fmac_f16_e32 v7, 0xb70e, v3
	v_fmac_f16_e32 v31, 0xb70e, v11
	v_fmac_f16_e32 v8, 0xb70e, v11
	v_fmac_f16_e32 v5, 0xb70e, v3
	v_add_f16_e32 v3, v35, v24
	v_sub_f16_e32 v11, v27, v34
	v_pack_b32_f16 v2, v2, v15
	v_add_f16_e32 v23, v7, v9
	v_sub_f16_e32 v32, v10, v31
	v_pack_b32_f16 v15, v26, v28
	v_sub_f16_e32 v37, v33, v5
	v_add_f16_e32 v40, v8, v36
	v_pack_b32_f16 v26, v38, v39
	v_add_f16_e32 v5, v5, v33
	v_sub_f16_e32 v8, v36, v8
	v_pack_b32_f16 v4, v4, v30
	v_sub_f16_e32 v7, v9, v7
	v_add_f16_e32 v9, v31, v10
	v_pack_b32_f16 v0, v0, v29
	v_pack_b32_f16 v6, v6, v12
	v_sub_f16_e32 v10, v24, v35
	v_add_f16_e32 v24, v34, v27
	v_pack_b32_f16 v12, v13, v14
	v_pack_b32_f16 v1, v1, v25
	ds_store_b32 v75, v2 offset:1008
	ds_store_b32 v75, v15 offset:2016
	;; [unrolled: 1-line block ×6, first 2 shown]
	ds_store_2addr_b32 v75, v0, v1 offset1:126
	v_pack_b32_f16 v0, v3, v11
	v_pack_b32_f16 v1, v23, v32
	;; [unrolled: 1-line block ×6, first 2 shown]
	ds_store_b32 v75, v0 offset:1512
	ds_store_b32 v75, v1 offset:2520
	;; [unrolled: 1-line block ×6, first 2 shown]
	global_wb scope:SCOPE_SE
	s_wait_dscnt 0x0
	s_barrier_signal -1
	s_barrier_wait -1
	global_inv scope:SCOPE_SE
	ds_load_2addr_b32 v[1:2], v75 offset1:126
	s_wait_dscnt 0x0
	v_lshrrev_b32_e32 v0, 16, v1
	s_delay_alu instid0(VALU_DEP_1) | instskip(NEXT) | instid1(VALU_DEP_1)
	v_mul_f16_e32 v3, v78, v0
	v_fmac_f16_e32 v3, v73, v1
	v_mul_f16_e32 v1, v78, v1
	s_delay_alu instid0(VALU_DEP_2) | instskip(NEXT) | instid1(VALU_DEP_2)
	v_cvt_f32_f16_e32 v3, v3
	v_fma_f16 v0, v73, v0, -v1
	s_delay_alu instid0(VALU_DEP_2) | instskip(NEXT) | instid1(VALU_DEP_2)
	v_cvt_f64_f32_e32 v[3:4], v3
	v_cvt_f32_f16_e32 v0, v0
	s_delay_alu instid0(VALU_DEP_1) | instskip(SKIP_3) | instid1(VALU_DEP_1)
	v_cvt_f64_f32_e32 v[5:6], v0
	ds_load_2addr_b32 v[0:1], v22 offset0:116 offset1:242
	s_wait_dscnt 0x0
	v_lshrrev_b32_e32 v9, 16, v1
	v_mul_f16_e32 v7, v77, v9
	s_delay_alu instid0(VALU_DEP_1) | instskip(SKIP_3) | instid1(VALU_DEP_3)
	v_fmac_f16_e32 v7, v76, v1
	s_wait_alu 0xfffe
	v_mul_f64_e32 v[3:4], s[8:9], v[3:4]
	v_mul_f16_e32 v1, v77, v1
	v_cvt_f32_f16_e32 v7, v7
	v_mul_f64_e32 v[5:6], s[8:9], v[5:6]
	s_delay_alu instid0(VALU_DEP_3) | instskip(NEXT) | instid1(VALU_DEP_1)
	v_fma_f16 v1, v76, v9, -v1
	v_cvt_f32_f16_e32 v1, v1
	v_and_or_b32 v3, 0x1ff, v4, v3
	v_lshrrev_b32_e32 v8, 8, v4
	v_bfe_u32 v10, v4, 20, 11
	s_delay_alu instid0(VALU_DEP_3) | instskip(SKIP_1) | instid1(VALU_DEP_3)
	v_cmp_ne_u32_e32 vcc_lo, 0, v3
	v_and_or_b32 v5, 0x1ff, v6, v5
	v_sub_nc_u32_e32 v11, 0x3f1, v10
	v_lshrrev_b32_e32 v14, 8, v6
	v_bfe_u32 v15, v6, 20, 11
	s_wait_alu 0xfffd
	v_cndmask_b32_e64 v3, 0, 1, vcc_lo
	v_cmp_ne_u32_e32 vcc_lo, 0, v5
	v_med3_i32 v11, v11, 0, 13
	v_add_nc_u32_e32 v22, 0xfffffc10, v10
	v_sub_nc_u32_e32 v10, 0x3f1, v15
	v_and_or_b32 v3, 0xffe, v8, v3
	v_cvt_f64_f32_e32 v[7:8], v7
	s_wait_alu 0xfffd
	v_cndmask_b32_e64 v5, 0, 1, vcc_lo
	v_add_nc_u32_e32 v15, 0xfffffc10, v15
	v_lshrrev_b32_e32 v6, 16, v6
	v_or_b32_e32 v12, 0x1000, v3
	s_delay_alu instid0(VALU_DEP_4) | instskip(SKIP_1) | instid1(VALU_DEP_3)
	v_and_or_b32 v5, 0xffe, v14, v5
	v_med3_i32 v14, v10, 0, 13
	v_lshrrev_b32_e32 v13, v11, v12
	s_delay_alu instid0(VALU_DEP_1) | instskip(NEXT) | instid1(VALU_DEP_1)
	v_lshlrev_b32_e32 v11, v11, v13
	v_cmp_ne_u32_e32 vcc_lo, v11, v12
	s_wait_alu 0xfffd
	v_cndmask_b32_e64 v11, 0, 1, vcc_lo
	v_cmp_gt_i32_e32 vcc_lo, 1, v22
	s_delay_alu instid0(VALU_DEP_2) | instskip(SKIP_3) | instid1(VALU_DEP_2)
	v_or_b32_e32 v9, v13, v11
	v_lshl_or_b32 v11, v22, 12, v3
	v_or_b32_e32 v13, 0x1000, v5
	s_wait_alu 0xfffd
	v_cndmask_b32_e32 v23, v11, v9, vcc_lo
	v_mad_co_u64_u32 v[9:10], null, s6, v16, 0
	s_delay_alu instid0(VALU_DEP_3) | instskip(SKIP_1) | instid1(VALU_DEP_4)
	v_lshrrev_b32_e32 v24, v14, v13
	v_cvt_f64_f32_e32 v[11:12], v1
	v_and_b32_e32 v25, 7, v23
	v_mul_f64_e32 v[7:8], s[8:9], v[7:8]
	s_delay_alu instid0(VALU_DEP_4) | instskip(SKIP_1) | instid1(VALU_DEP_4)
	v_lshlrev_b32_e32 v14, v14, v24
	v_mov_b32_e32 v1, v10
	v_cmp_lt_i32_e32 vcc_lo, 5, v25
	v_cmp_eq_u32_e64 s0, 3, v25
	s_delay_alu instid0(VALU_DEP_4) | instskip(NEXT) | instid1(VALU_DEP_4)
	v_cmp_ne_u32_e64 s1, v14, v13
	v_mad_co_u64_u32 v[13:14], null, s7, v16, v[1:2]
	v_lshrrev_b32_e32 v1, 2, v23
	s_delay_alu instid0(VALU_DEP_4) | instskip(NEXT) | instid1(VALU_DEP_3)
	s_or_b32 vcc_lo, s0, vcc_lo
	v_cndmask_b32_e64 v10, 0, 1, s1
	v_lshl_or_b32 v14, v15, 12, v5
	s_movk_i32 s6, 0xf430
	s_wait_alu 0xfffe
	v_add_co_ci_u32_e32 v1, vcc_lo, 0, v1, vcc_lo
	v_cmp_ne_u32_e32 vcc_lo, 0, v3
	v_or_b32_e32 v10, v24, v10
	s_mov_b32 s7, -1
	s_wait_alu 0xfffd
	v_cndmask_b32_e64 v3, 0, 1, vcc_lo
	v_cmp_gt_i32_e32 vcc_lo, 1, v15
	s_delay_alu instid0(VALU_DEP_2)
	v_lshl_or_b32 v3, v3, 9, 0x7c00
	s_wait_alu 0xfffd
	v_cndmask_b32_e32 v14, v14, v10, vcc_lo
	v_cmp_gt_i32_e32 vcc_lo, 31, v22
	v_mov_b32_e32 v10, v13
	s_wait_alu 0xfffd
	s_delay_alu instid0(VALU_DEP_3) | instskip(SKIP_3) | instid1(VALU_DEP_4)
	v_dual_cndmask_b32 v1, 0x7c00, v1 :: v_dual_and_b32 v16, 7, v14
	v_cmp_eq_u32_e32 vcc_lo, 0x40f, v22
	v_lshrrev_b32_e32 v13, 2, v14
	v_lshrrev_b32_e32 v22, 16, v2
	v_cmp_eq_u32_e64 s0, 3, v16
	v_and_or_b32 v7, 0x1ff, v8, v7
	s_wait_alu 0xfffd
	v_cndmask_b32_e32 v1, v1, v3, vcc_lo
	v_cmp_lt_i32_e32 vcc_lo, 5, v16
	v_lshrrev_b32_e32 v16, 16, v4
	v_mul_f64_e32 v[3:4], s[8:9], v[11:12]
	v_mul_f16_e32 v14, v74, v22
	v_lshrrev_b32_e32 v24, 8, v8
	s_or_b32 vcc_lo, s0, vcc_lo
	v_bfe_u32 v25, v8, 20, 11
	s_wait_alu 0xfffe
	v_add_co_ci_u32_e32 v23, vcc_lo, 0, v13, vcc_lo
	v_cmp_ne_u32_e32 vcc_lo, 0, v5
	v_fmac_f16_e32 v14, v71, v2
	v_mad_co_u64_u32 v[11:12], null, s4, v69, 0
	v_and_or_b32 v16, 0x8000, v16, v1
	s_wait_alu 0xfffd
	v_cndmask_b32_e64 v5, 0, 1, vcc_lo
	v_cmp_ne_u32_e32 vcc_lo, 0, v7
	v_cvt_f32_f16_e32 v13, v14
	s_delay_alu instid0(VALU_DEP_3)
	v_lshl_or_b32 v5, v5, 9, 0x7c00
	s_wait_alu 0xfffd
	v_cndmask_b32_e64 v7, 0, 1, vcc_lo
	v_cmp_gt_i32_e32 vcc_lo, 31, v15
	v_cvt_f64_f32_e32 v[13:14], v13
	v_mov_b32_e32 v1, v12
	v_mul_f16_e32 v12, v74, v2
	v_and_or_b32 v7, 0xffe, v24, v7
	s_wait_alu 0xfffd
	v_cndmask_b32_e32 v23, 0x7c00, v23, vcc_lo
	v_cmp_eq_u32_e32 vcc_lo, 0x40f, v15
	v_sub_nc_u32_e32 v24, 0x3f1, v25
	v_or_b32_e32 v15, 0x1000, v7
	s_wait_alu 0xfffd
	v_cndmask_b32_e32 v5, v23, v5, vcc_lo
	s_delay_alu instid0(VALU_DEP_3) | instskip(NEXT) | instid1(VALU_DEP_2)
	v_med3_i32 v23, v24, 0, 13
	v_and_or_b32 v5, 0x8000, v6, v5
	v_and_b32_e32 v6, 0xffff, v16
	v_mad_co_u64_u32 v[1:2], null, s5, v69, v[1:2]
	v_fma_f16 v2, v71, v22, -v12
	v_lshrrev_b32_e32 v22, v23, v15
	v_and_or_b32 v3, 0x1ff, v4, v3
	v_lshrrev_b32_e32 v24, 8, v4
	s_delay_alu instid0(VALU_DEP_4) | instskip(NEXT) | instid1(VALU_DEP_4)
	v_cvt_f32_f16_e32 v2, v2
	v_lshlrev_b32_e32 v16, v23, v22
	v_mov_b32_e32 v12, v1
	v_lshl_or_b32 v23, v5, 16, v6
	v_lshlrev_b64_e32 v[5:6], 2, v[9:10]
	v_cvt_f64_f32_e32 v[1:2], v2
	v_cmp_ne_u32_e32 vcc_lo, v16, v15
	v_add_nc_u32_e32 v16, 0xfffffc10, v25
	v_bfe_u32 v25, v4, 20, 11
	v_lshlrev_b64_e32 v[11:12], 2, v[11:12]
	v_lshrrev_b32_e32 v4, 16, v4
	s_wait_alu 0xfffd
	v_cndmask_b32_e64 v15, 0, 1, vcc_lo
	v_cmp_ne_u32_e32 vcc_lo, 0, v3
	v_mul_f64_e32 v[9:10], s[8:9], v[13:14]
	ds_load_2addr_b32 v[13:14], v21 offset0:112 offset1:238
	v_or_b32_e32 v15, v22, v15
	s_wait_alu 0xfffd
	v_cndmask_b32_e64 v3, 0, 1, vcc_lo
	v_lshl_or_b32 v22, v16, 12, v7
	v_cmp_gt_i32_e32 vcc_lo, 1, v16
	s_delay_alu instid0(VALU_DEP_3)
	v_and_or_b32 v3, 0xffe, v24, v3
	v_sub_nc_u32_e32 v24, 0x3f1, v25
	s_wait_alu 0xfffd
	v_cndmask_b32_e32 v15, v22, v15, vcc_lo
	v_add_co_u32 v5, vcc_lo, s2, v5
	v_or_b32_e32 v21, 0x1000, v3
	v_med3_i32 v22, v24, 0, 13
	s_wait_alu 0xfffd
	v_add_co_ci_u32_e32 v6, vcc_lo, s3, v6, vcc_lo
	v_add_co_u32 v5, vcc_lo, v5, v11
	s_delay_alu instid0(VALU_DEP_3)
	v_lshrrev_b32_e32 v26, v22, v21
	v_and_b32_e32 v24, 7, v15
	s_wait_alu 0xfffd
	v_add_co_ci_u32_e32 v6, vcc_lo, v6, v12, vcc_lo
	v_lshrrev_b32_e32 v12, 2, v15
	v_lshlrev_b32_e32 v11, v22, v26
	v_cmp_lt_i32_e32 vcc_lo, 5, v24
	v_cmp_eq_u32_e64 s0, 3, v24
	s_wait_dscnt 0x0
	v_lshrrev_b32_e32 v15, 16, v13
	global_store_b32 v[5:6], v23, off
	v_cmp_ne_u32_e64 s1, v11, v21
	v_mul_f64_e32 v[1:2], s[8:9], v[1:2]
	s_or_b32 vcc_lo, s0, vcc_lo
	v_mul_f16_e32 v22, v72, v15
	s_wait_alu 0xfffe
	v_add_co_ci_u32_e32 v12, vcc_lo, 0, v12, vcc_lo
	v_cndmask_b32_e64 v11, 0, 1, s1
	v_cmp_ne_u32_e32 vcc_lo, 0, v7
	v_fmac_f16_e32 v22, v70, v13
	v_and_or_b32 v9, 0x1ff, v10, v9
	v_bfe_u32 v27, v10, 20, 11
	v_or_b32_e32 v11, v26, v11
	v_add_nc_u32_e32 v21, 0xfffffc10, v25
	s_wait_alu 0xfffd
	v_cndmask_b32_e64 v7, 0, 1, vcc_lo
	v_lshrrev_b32_e32 v26, 8, v10
	s_mul_u64 s[2:3], s[4:5], 0xdc8
	s_mul_u64 s[4:5], s[4:5], s[6:7]
	v_lshl_or_b32 v24, v21, 12, v3
	v_cmp_gt_i32_e32 vcc_lo, 1, v21
	v_lshl_or_b32 v7, v7, 9, 0x7c00
	s_wait_alu 0xfffd
	s_delay_alu instid0(VALU_DEP_3)
	v_cndmask_b32_e32 v24, v24, v11, vcc_lo
	v_cmp_gt_i32_e32 vcc_lo, 31, v16
	v_cvt_f32_f16_e32 v11, v22
	s_wait_alu 0xfffd
	v_cndmask_b32_e32 v22, 0x7c00, v12, vcc_lo
	v_cmp_ne_u32_e32 vcc_lo, 0, v9
	s_delay_alu instid0(VALU_DEP_3)
	v_cvt_f64_f32_e32 v[11:12], v11
	s_wait_alu 0xfffd
	v_cndmask_b32_e64 v9, 0, 1, vcc_lo
	v_cmp_eq_u32_e32 vcc_lo, 0x40f, v16
	v_and_b32_e32 v25, 7, v24
	v_and_or_b32 v1, 0x1ff, v2, v1
	s_delay_alu instid0(VALU_DEP_4)
	v_and_or_b32 v9, 0xffe, v26, v9
	s_wait_alu 0xfffd
	v_cndmask_b32_e32 v16, v22, v7, vcc_lo
	v_cmp_lt_i32_e32 vcc_lo, 5, v25
	v_cmp_eq_u32_e64 s0, 3, v25
	v_lshrrev_b32_e32 v22, 16, v8
	v_lshrrev_b32_e32 v8, 2, v24
	v_sub_nc_u32_e32 v7, 0x3f1, v27
	v_or_b32_e32 v24, 0x1000, v9
	s_or_b32 vcc_lo, s0, vcc_lo
	v_bfe_u32 v28, v2, 20, 11
	s_wait_alu 0xfffe
	v_add_co_ci_u32_e32 v8, vcc_lo, 0, v8, vcc_lo
	v_med3_i32 v7, v7, 0, 13
	v_cmp_ne_u32_e32 vcc_lo, 0, v3
	v_and_or_b32 v16, 0x8000, v22, v16
	s_delay_alu instid0(VALU_DEP_3) | instskip(SKIP_3) | instid1(VALU_DEP_3)
	v_lshrrev_b32_e32 v25, v7, v24
	s_wait_alu 0xfffd
	v_cndmask_b32_e64 v3, 0, 1, vcc_lo
	v_cmp_gt_i32_e32 vcc_lo, 31, v21
	v_lshlrev_b32_e32 v7, v7, v25
	s_delay_alu instid0(VALU_DEP_3)
	v_lshl_or_b32 v3, v3, 9, 0x7c00
	s_wait_alu 0xfffd
	v_cndmask_b32_e32 v26, 0x7c00, v8, vcc_lo
	v_cmp_ne_u32_e32 vcc_lo, 0, v1
	v_mul_f16_e32 v8, v72, v13
	v_lshrrev_b32_e32 v13, 8, v2
	v_lshrrev_b32_e32 v2, 16, v2
	s_wait_alu 0xfffd
	v_cndmask_b32_e64 v1, 0, 1, vcc_lo
	v_cmp_ne_u32_e32 vcc_lo, v7, v24
	v_fma_f16 v8, v70, v15, -v8
	v_add_nc_u32_e32 v24, 0xfffffc10, v27
	s_delay_alu instid0(VALU_DEP_4)
	v_and_or_b32 v1, 0xffe, v13, v1
	s_wait_alu 0xfffd
	v_cndmask_b32_e64 v15, 0, 1, vcc_lo
	v_sub_nc_u32_e32 v13, 0x3f1, v28
	v_cmp_gt_i32_e32 vcc_lo, 1, v24
	v_cvt_f32_f16_e32 v27, v8
	v_mul_f64_e32 v[7:8], s[8:9], v[11:12]
	v_or_b32_e32 v15, v25, v15
	v_lshl_or_b32 v25, v24, 12, v9
	v_or_b32_e32 v29, 0x1000, v1
	v_cvt_f64_f32_e32 v[11:12], v27
	v_med3_i32 v13, v13, 0, 13
	s_wait_alu 0xfffd
	v_cndmask_b32_e32 v15, v25, v15, vcc_lo
	v_cmp_eq_u32_e32 vcc_lo, 0x40f, v21
	v_lshrrev_b32_e32 v25, 16, v10
	v_lshrrev_b32_e32 v21, v13, v29
	s_delay_alu instid0(VALU_DEP_4) | instskip(SKIP_3) | instid1(VALU_DEP_3)
	v_and_b32_e32 v22, 7, v15
	s_wait_alu 0xfffd
	v_cndmask_b32_e32 v3, v26, v3, vcc_lo
	v_lshrrev_b32_e32 v15, 2, v15
	v_cmp_lt_i32_e32 vcc_lo, 5, v22
	v_cmp_eq_u32_e64 s0, 3, v22
	s_delay_alu instid0(VALU_DEP_4) | instskip(SKIP_2) | instid1(VALU_DEP_4)
	v_and_or_b32 v23, 0x8000, v4, v3
	v_lshlrev_b32_e32 v3, v13, v21
	v_and_b32_e32 v13, 0xffff, v16
	s_or_b32 vcc_lo, s0, vcc_lo
	s_wait_alu 0xfffe
	v_add_co_ci_u32_e32 v15, vcc_lo, 0, v15, vcc_lo
	v_cmp_ne_u32_e64 s1, v3, v29
	ds_load_2addr_b32 v[3:4], v20 offset0:124 offset1:250
	v_cmp_ne_u32_e32 vcc_lo, 0, v9
	v_add_nc_u32_e32 v20, 0xfffffc10, v28
	s_wait_alu 0xf1ff
	v_cndmask_b32_e64 v16, 0, 1, s1
	s_wait_alu 0xfffd
	v_cndmask_b32_e64 v9, 0, 1, vcc_lo
	v_cmp_gt_i32_e32 vcc_lo, 31, v24
	s_delay_alu instid0(VALU_DEP_3) | instskip(SKIP_1) | instid1(VALU_DEP_4)
	v_or_b32_e32 v16, v21, v16
	v_lshl_or_b32 v21, v20, 12, v1
	v_lshl_or_b32 v9, v9, 9, 0x7c00
	s_wait_alu 0xfffd
	v_cndmask_b32_e32 v15, 0x7c00, v15, vcc_lo
	v_cmp_gt_i32_e32 vcc_lo, 1, v20
	v_and_or_b32 v7, 0x1ff, v8, v7
	v_mul_f64_e32 v[11:12], s[8:9], v[11:12]
	v_lshrrev_b32_e32 v22, 8, v8
	s_wait_alu 0xfffd
	v_cndmask_b32_e32 v16, v21, v16, vcc_lo
	v_cmp_eq_u32_e32 vcc_lo, 0x40f, v24
	v_lshl_or_b32 v21, v23, 16, v13
	v_bfe_u32 v23, v8, 20, 11
	s_wait_alu 0xfffd
	v_cndmask_b32_e32 v13, v15, v9, vcc_lo
	s_wait_dscnt 0x0
	v_lshrrev_b32_e32 v15, 16, v3
	v_cmp_ne_u32_e32 vcc_lo, 0, v7
	v_and_b32_e32 v9, 7, v16
	v_sub_nc_u32_e32 v10, 0x3f1, v23
	v_and_or_b32 v13, 0x8000, v25, v13
	v_mul_f16_e32 v24, v68, v15
	s_wait_alu 0xfffd
	v_cndmask_b32_e64 v7, 0, 1, vcc_lo
	v_cmp_lt_i32_e32 vcc_lo, 5, v9
	v_cmp_eq_u32_e64 s0, 3, v9
	v_lshrrev_b32_e32 v9, 2, v16
	v_fmac_f16_e32 v24, v66, v3
	v_and_or_b32 v7, 0xffe, v22, v7
	v_med3_i32 v22, v10, 0, 13
	s_or_b32 vcc_lo, s0, vcc_lo
	v_mul_f16_e32 v3, v68, v3
	v_cvt_f32_f16_e32 v10, v24
	s_wait_alu 0xfffe
	v_add_co_ci_u32_e32 v24, vcc_lo, 0, v9, vcc_lo
	v_or_b32_e32 v16, 0x1000, v7
	v_cmp_ne_u32_e32 vcc_lo, 0, v1
	v_cvt_f64_f32_e32 v[9:10], v10
	v_fma_f16 v3, v66, v15, -v3
	v_and_b32_e32 v13, 0xffff, v13
	v_lshrrev_b32_e32 v26, v22, v16
	s_wait_alu 0xfffd
	v_cndmask_b32_e64 v1, 0, 1, vcc_lo
	v_cmp_gt_i32_e32 vcc_lo, 31, v20
	s_delay_alu instid0(VALU_DEP_3) | instskip(NEXT) | instid1(VALU_DEP_3)
	v_lshlrev_b32_e32 v22, v22, v26
	v_lshl_or_b32 v1, v1, 9, 0x7c00
	s_wait_alu 0xfffd
	v_cndmask_b32_e32 v24, 0x7c00, v24, vcc_lo
	v_cmp_eq_u32_e32 vcc_lo, 0x40f, v20
	v_and_or_b32 v11, 0x1ff, v12, v11
	v_add_nc_u32_e32 v20, 0xfffffc10, v23
	v_bfe_u32 v23, v12, 20, 11
	s_wait_alu 0xfffd
	v_cndmask_b32_e32 v1, v24, v1, vcc_lo
	v_cmp_ne_u32_e32 vcc_lo, v22, v16
	v_lshl_or_b32 v22, v20, 12, v7
	s_delay_alu instid0(VALU_DEP_3)
	v_and_or_b32 v15, 0x8000, v2, v1
	s_wait_alu 0xfffd
	v_cndmask_b32_e64 v16, 0, 1, vcc_lo
	v_cvt_f32_f16_e32 v1, v3
	v_cmp_ne_u32_e32 vcc_lo, 0, v11
	v_lshrrev_b32_e32 v11, 8, v12
	v_lshl_or_b32 v25, v15, 16, v13
	v_or_b32_e32 v16, v26, v16
	v_cvt_f64_f32_e32 v[1:2], v1
	s_wait_alu 0xfffd
	v_cndmask_b32_e64 v3, 0, 1, vcc_lo
	v_cmp_gt_i32_e32 vcc_lo, 1, v20
	v_lshrrev_b32_e32 v12, 16, v12
	s_delay_alu instid0(VALU_DEP_3)
	v_and_or_b32 v3, 0xffe, v11, v3
	s_wait_alu 0xfffd
	v_cndmask_b32_e32 v16, v22, v16, vcc_lo
	v_sub_nc_u32_e32 v11, 0x3f1, v23
	v_add_co_u32 v5, vcc_lo, v5, s2
	v_mul_f64_e32 v[9:10], s[8:9], v[9:10]
	s_delay_alu instid0(VALU_DEP_4)
	v_and_b32_e32 v22, 7, v16
	v_or_b32_e32 v24, 0x1000, v3
	v_med3_i32 v11, v11, 0, 13
	s_wait_alu 0xfffd
	v_add_co_ci_u32_e32 v6, vcc_lo, s3, v6, vcc_lo
	v_cmp_lt_i32_e32 vcc_lo, 5, v22
	v_cmp_eq_u32_e64 s0, 3, v22
	v_lshrrev_b32_e32 v15, 2, v16
	v_lshrrev_b32_e32 v13, v11, v24
	v_add_nc_u32_e32 v22, 0xfffffc10, v23
	v_lshrrev_b32_e32 v23, 16, v14
	s_or_b32 vcc_lo, s0, vcc_lo
	s_wait_alu 0xfffe
	v_add_co_ci_u32_e32 v15, vcc_lo, 0, v15, vcc_lo
	v_lshlrev_b32_e32 v11, v11, v13
	v_cmp_ne_u32_e32 vcc_lo, 0, v7
	v_mul_f16_e32 v16, v67, v23
	s_wait_alu 0xfffd
	v_cndmask_b32_e64 v7, 0, 1, vcc_lo
	v_cmp_ne_u32_e32 vcc_lo, v11, v24
	s_delay_alu instid0(VALU_DEP_3)
	v_fmac_f16_e32 v16, v65, v14
	v_mul_f16_e32 v14, v67, v14
	v_mul_f64_e32 v[1:2], s[8:9], v[1:2]
	s_wait_alu 0xfffd
	v_cndmask_b32_e64 v11, 0, 1, vcc_lo
	v_cmp_gt_i32_e32 vcc_lo, 31, v20
	v_lshl_or_b32 v7, v7, 9, 0x7c00
	v_cvt_f32_f16_e32 v16, v16
	v_fma_f16 v14, v65, v23, -v14
	v_or_b32_e32 v11, v13, v11
	s_wait_alu 0xfffd
	v_cndmask_b32_e32 v15, 0x7c00, v15, vcc_lo
	v_lshl_or_b32 v13, v22, 12, v3
	v_cmp_gt_i32_e32 vcc_lo, 1, v22
	v_and_or_b32 v9, 0x1ff, v10, v9
	s_wait_alu 0xfffd
	s_delay_alu instid0(VALU_DEP_3) | instskip(SKIP_1) | instid1(VALU_DEP_3)
	v_cndmask_b32_e32 v11, v13, v11, vcc_lo
	v_cmp_eq_u32_e32 vcc_lo, 0x40f, v20
	v_cmp_ne_u32_e64 s1, 0, v9
	s_delay_alu instid0(VALU_DEP_3)
	v_and_b32_e32 v20, 7, v11
	s_wait_alu 0xfffd
	v_cndmask_b32_e32 v13, v15, v7, vcc_lo
	v_lshrrev_b32_e32 v15, 16, v8
	v_add_co_u32 v7, vcc_lo, v5, s4
	s_wait_alu 0xfffd
	v_add_co_ci_u32_e32 v8, vcc_lo, s5, v6, vcc_lo
	s_delay_alu instid0(VALU_DEP_3)
	v_and_or_b32 v24, 0x8000, v15, v13
	v_cvt_f64_f32_e32 v[15:16], v16
	v_cmp_lt_i32_e32 vcc_lo, 5, v20
	v_cmp_eq_u32_e64 s0, 3, v20
	s_wait_alu 0xf1ff
	v_cndmask_b32_e64 v9, 0, 1, s1
	v_lshrrev_b32_e32 v13, 8, v10
	v_bfe_u32 v20, v10, 20, 11
	s_clause 0x1
	global_store_b32 v[5:6], v21, off
	global_store_b32 v[7:8], v25, off
	s_or_b32 vcc_lo, s0, vcc_lo
	v_and_or_b32 v9, 0xffe, v13, v9
	v_sub_nc_u32_e32 v13, 0x3f1, v20
	v_add_nc_u32_e32 v20, 0xfffffc10, v20
	v_lshrrev_b32_e32 v11, 2, v11
	v_and_or_b32 v1, 0x1ff, v2, v1
	v_or_b32_e32 v23, 0x1000, v9
	v_med3_i32 v26, v13, 0, 13
	v_cvt_f32_f16_e32 v13, v14
	s_wait_alu 0xfffe
	v_add_co_ci_u32_e32 v11, vcc_lo, 0, v11, vcc_lo
	v_cmp_ne_u32_e32 vcc_lo, 0, v3
	v_lshrrev_b32_e32 v27, v26, v23
	v_cvt_f64_f32_e32 v[13:14], v13
	s_wait_alu 0xfffd
	v_cndmask_b32_e64 v3, 0, 1, vcc_lo
	v_cmp_gt_i32_e32 vcc_lo, 31, v22
	s_delay_alu instid0(VALU_DEP_2)
	v_lshl_or_b32 v3, v3, 9, 0x7c00
	s_wait_alu 0xfffd
	v_cndmask_b32_e32 v11, 0x7c00, v11, vcc_lo
	v_cmp_eq_u32_e32 vcc_lo, 0x40f, v22
	v_lshrrev_b32_e32 v22, 8, v2
	s_wait_alu 0xfffd
	s_delay_alu instid0(VALU_DEP_3)
	v_cndmask_b32_e32 v3, v11, v3, vcc_lo
	v_lshlrev_b32_e32 v11, v26, v27
	v_cmp_ne_u32_e32 vcc_lo, 0, v1
	v_bfe_u32 v26, v2, 20, 11
	v_mul_f64_e32 v[15:16], s[8:9], v[15:16]
	v_and_or_b32 v3, 0x8000, v12, v3
	v_and_b32_e32 v12, 0xffff, v24
	s_wait_alu 0xfffd
	v_cndmask_b32_e64 v1, 0, 1, vcc_lo
	v_cmp_ne_u32_e32 vcc_lo, v11, v23
	v_lshl_or_b32 v23, v20, 12, v9
	v_lshrrev_b32_e32 v2, 16, v2
	v_lshl_or_b32 v21, v3, 16, v12
	v_and_or_b32 v1, 0xffe, v22, v1
	s_wait_alu 0xfffd
	v_cndmask_b32_e64 v11, 0, 1, vcc_lo
	v_sub_nc_u32_e32 v22, 0x3f1, v26
	v_cmp_gt_i32_e32 vcc_lo, 1, v20
	s_delay_alu instid0(VALU_DEP_3) | instskip(SKIP_1) | instid1(VALU_DEP_4)
	v_or_b32_e32 v11, v27, v11
	v_or_b32_e32 v27, 0x1000, v1
	v_med3_i32 v22, v22, 0, 13
	s_wait_alu 0xfffd
	s_delay_alu instid0(VALU_DEP_3) | instskip(SKIP_1) | instid1(VALU_DEP_3)
	v_cndmask_b32_e32 v11, v23, v11, vcc_lo
	v_add_co_u32 v5, vcc_lo, v7, s2
	v_lshrrev_b32_e32 v23, v22, v27
	s_wait_alu 0xfffd
	v_add_co_ci_u32_e32 v6, vcc_lo, s3, v8, vcc_lo
	v_and_b32_e32 v3, 7, v11
	v_mul_f64_e32 v[7:8], s[8:9], v[13:14]
	v_lshlrev_b32_e32 v12, v22, v23
	v_add_nc_u32_e32 v22, 0xfffffc10, v26
	v_lshrrev_b32_e32 v13, 16, v4
	v_cmp_lt_i32_e32 vcc_lo, 5, v3
	v_cmp_eq_u32_e64 s0, 3, v3
	v_lshrrev_b32_e32 v3, 2, v11
	v_cmp_ne_u32_e64 s1, v12, v27
	v_lshl_or_b32 v12, v22, 12, v1
	v_mul_f16_e32 v14, v64, v13
	s_or_b32 vcc_lo, s0, vcc_lo
	global_store_b32 v[5:6], v21, off
	s_wait_alu 0xfffe
	v_add_co_ci_u32_e32 v3, vcc_lo, 0, v3, vcc_lo
	v_cndmask_b32_e64 v11, 0, 1, s1
	v_cmp_ne_u32_e32 vcc_lo, 0, v9
	v_fmac_f16_e32 v14, v62, v4
	v_lshrrev_b32_e32 v24, 8, v16
	v_bfe_u32 v25, v16, 20, 11
	v_or_b32_e32 v11, v23, v11
	s_wait_alu 0xfffd
	v_cndmask_b32_e64 v9, 0, 1, vcc_lo
	v_cmp_gt_i32_e32 vcc_lo, 1, v22
	v_mul_f16_e32 v4, v64, v4
	s_delay_alu instid0(VALU_DEP_3)
	v_lshl_or_b32 v9, v9, 9, 0x7c00
	s_wait_alu 0xfffd
	v_cndmask_b32_e32 v23, v12, v11, vcc_lo
	v_and_or_b32 v11, 0x1ff, v16, v15
	v_cmp_gt_i32_e32 vcc_lo, 31, v20
	v_cvt_f32_f16_e32 v12, v14
	v_fma_f16 v4, v62, v13, -v4
	v_and_b32_e32 v15, 7, v23
	v_lshrrev_b32_e32 v16, 16, v16
	s_wait_alu 0xfffd
	v_cndmask_b32_e32 v3, 0x7c00, v3, vcc_lo
	v_cmp_ne_u32_e32 vcc_lo, 0, v11
	v_cvt_f64_f32_e32 v[11:12], v12
	v_cmp_eq_u32_e64 s0, 3, v15
	v_cvt_f32_f16_e32 v4, v4
	v_and_or_b32 v7, 0x1ff, v8, v7
	s_wait_alu 0xfffd
	v_cndmask_b32_e64 v14, 0, 1, vcc_lo
	v_cmp_eq_u32_e32 vcc_lo, 0x40f, v20
	v_bfe_u32 v13, v8, 20, 11
	s_delay_alu instid0(VALU_DEP_3)
	v_and_or_b32 v14, 0xffe, v24, v14
	s_wait_alu 0xfffd
	v_cndmask_b32_e32 v20, v3, v9, vcc_lo
	v_sub_nc_u32_e32 v3, 0x3f1, v25
	v_cmp_lt_i32_e32 vcc_lo, 5, v15
	v_lshrrev_b32_e32 v9, 2, v23
	v_or_b32_e32 v15, 0x1000, v14
	v_lshrrev_b32_e32 v23, 16, v10
	v_med3_i32 v3, v3, 0, 13
	s_or_b32 vcc_lo, s0, vcc_lo
	v_add_nc_u32_e32 v25, 0xfffffc10, v25
	s_wait_alu 0xfffe
	v_add_co_ci_u32_e32 v9, vcc_lo, 0, v9, vcc_lo
	v_lshrrev_b32_e32 v10, v3, v15
	v_cmp_gt_i32_e32 vcc_lo, 31, v22
	v_lshl_or_b32 v26, v25, 12, v14
	v_and_or_b32 v20, 0x8000, v23, v20
	s_wait_alu 0xfffd
	v_dual_cndmask_b32 v24, 0x7c00, v9 :: v_dual_lshlrev_b32 v3, v3, v10
	v_cmp_ne_u32_e32 vcc_lo, 0, v7
	v_lshrrev_b32_e32 v9, 8, v8
	v_lshrrev_b32_e32 v8, 16, v8
	s_wait_alu 0xfffd
	v_cndmask_b32_e64 v7, 0, 1, vcc_lo
	v_cmp_ne_u32_e32 vcc_lo, v3, v15
	v_cvt_f64_f32_e32 v[3:4], v4
	s_delay_alu instid0(VALU_DEP_3)
	v_and_or_b32 v7, 0xffe, v9, v7
	s_wait_alu 0xfffd
	v_cndmask_b32_e64 v15, 0, 1, vcc_lo
	v_sub_nc_u32_e32 v9, 0x3f1, v13
	v_cmp_ne_u32_e32 vcc_lo, 0, v1
	v_add_nc_u32_e32 v13, 0xfffffc10, v13
	v_or_b32_e32 v27, 0x1000, v7
	v_or_b32_e32 v15, v10, v15
	v_med3_i32 v28, v9, 0, 13
	s_wait_alu 0xfffd
	v_cndmask_b32_e64 v1, 0, 1, vcc_lo
	v_cmp_gt_i32_e32 vcc_lo, 1, v25
	v_mul_f64_e32 v[9:10], s[8:9], v[11:12]
	ds_load_2addr_b32 v[11:12], v19 offset0:108 offset1:234
	v_lshl_or_b32 v1, v1, 9, 0x7c00
	s_wait_alu 0xfffd
	v_cndmask_b32_e32 v15, v26, v15, vcc_lo
	v_lshrrev_b32_e32 v26, v28, v27
	v_cmp_eq_u32_e32 vcc_lo, 0x40f, v22
	s_delay_alu instid0(VALU_DEP_3) | instskip(NEXT) | instid1(VALU_DEP_3)
	v_and_b32_e32 v19, 7, v15
	v_lshlrev_b32_e32 v22, v28, v26
	s_wait_alu 0xfffd
	v_cndmask_b32_e32 v1, v24, v1, vcc_lo
	s_delay_alu instid0(VALU_DEP_3) | instskip(NEXT) | instid1(VALU_DEP_3)
	v_cmp_lt_i32_e32 vcc_lo, 5, v19
	v_cmp_ne_u32_e64 s0, v22, v27
	s_delay_alu instid0(VALU_DEP_3)
	v_and_or_b32 v21, 0x8000, v2, v1
	v_lshrrev_b32_e32 v2, 2, v15
	v_lshl_or_b32 v15, v13, 12, v7
	s_wait_alu 0xf1ff
	v_cndmask_b32_e64 v1, 0, 1, s0
	v_cmp_eq_u32_e64 s0, 3, v19
	v_and_b32_e32 v19, 0xffff, v20
	s_wait_dscnt 0x0
	v_lshrrev_b32_e32 v22, 16, v11
	v_or_b32_e32 v1, v26, v1
	s_or_b32 vcc_lo, s0, vcc_lo
	v_lshl_or_b32 v21, v21, 16, v19
	s_wait_alu 0xfffe
	v_add_co_ci_u32_e32 v20, vcc_lo, 0, v2, vcc_lo
	v_cmp_gt_i32_e32 vcc_lo, 1, v13
	s_wait_alu 0xfffd
	v_cndmask_b32_e32 v15, v15, v1, vcc_lo
	v_cmp_ne_u32_e32 vcc_lo, 0, v14
	v_mul_f64_e32 v[1:2], s[8:9], v[3:4]
	v_mul_f16_e32 v3, v63, v22
	v_and_or_b32 v9, 0x1ff, v10, v9
	v_and_b32_e32 v4, 7, v15
	s_wait_alu 0xfffd
	v_cndmask_b32_e64 v14, 0, 1, vcc_lo
	v_cmp_gt_i32_e32 vcc_lo, 31, v25
	v_fmac_f16_e32 v3, v61, v11
	v_lshrrev_b32_e32 v15, 2, v15
	v_cmp_eq_u32_e64 s0, 3, v4
	v_cmp_ne_u32_e64 s1, 0, v9
	s_wait_alu 0xfffd
	v_cndmask_b32_e32 v20, 0x7c00, v20, vcc_lo
	v_cmp_lt_i32_e32 vcc_lo, 5, v4
	v_cvt_f32_f16_e32 v3, v3
	v_lshrrev_b32_e32 v23, 8, v10
	s_wait_alu 0xf1ff
	v_cndmask_b32_e64 v9, 0, 1, s1
	v_bfe_u32 v24, v10, 20, 11
	s_or_b32 vcc_lo, s0, vcc_lo
	v_cvt_f64_f32_e32 v[3:4], v3
	s_wait_alu 0xfffe
	v_add_co_ci_u32_e32 v15, vcc_lo, 0, v15, vcc_lo
	v_cmp_ne_u32_e32 vcc_lo, 0, v7
	v_and_or_b32 v9, 0xffe, v23, v9
	v_sub_nc_u32_e32 v23, 0x3f1, v24
	v_lshl_or_b32 v14, v14, 9, 0x7c00
	s_wait_alu 0xfffd
	v_cndmask_b32_e64 v7, 0, 1, vcc_lo
	v_cmp_gt_i32_e32 vcc_lo, 31, v13
	v_or_b32_e32 v26, 0x1000, v9
	v_med3_i32 v23, v23, 0, 13
	s_delay_alu instid0(VALU_DEP_4)
	v_lshl_or_b32 v7, v7, 9, 0x7c00
	s_wait_alu 0xfffd
	v_cndmask_b32_e32 v15, 0x7c00, v15, vcc_lo
	v_cmp_eq_u32_e32 vcc_lo, 0x40f, v25
	s_wait_alu 0xfffd
	v_cndmask_b32_e32 v14, v20, v14, vcc_lo
	v_lshrrev_b32_e32 v20, v23, v26
	v_cmp_eq_u32_e32 vcc_lo, 0x40f, v13
	v_and_or_b32 v1, 0x1ff, v2, v1
	v_bfe_u32 v19, v2, 20, 11
	v_and_or_b32 v14, 0x8000, v16, v14
	v_lshlrev_b32_e32 v13, v23, v20
	s_wait_alu 0xfffd
	v_cndmask_b32_e32 v7, v15, v7, vcc_lo
	s_delay_alu instid0(VALU_DEP_2) | instskip(NEXT) | instid1(VALU_DEP_2)
	v_cmp_ne_u32_e32 vcc_lo, v13, v26
	v_and_or_b32 v15, 0x8000, v8, v7
	v_mul_f16_e32 v7, v63, v11
	v_lshrrev_b32_e32 v11, 8, v2
	s_wait_alu 0xfffd
	v_cndmask_b32_e64 v8, 0, 1, vcc_lo
	v_cmp_ne_u32_e32 vcc_lo, 0, v1
	v_fma_f16 v7, v61, v22, -v7
	v_add_nc_u32_e32 v22, 0xfffffc10, v24
	v_mul_f64_e32 v[3:4], s[8:9], v[3:4]
	v_or_b32_e32 v16, v20, v8
	s_wait_alu 0xfffd
	v_cndmask_b32_e64 v1, 0, 1, vcc_lo
	v_cvt_f32_f16_e32 v7, v7
	v_lshl_or_b32 v20, v22, 12, v9
	v_cmp_gt_i32_e32 vcc_lo, 1, v22
	v_and_b32_e32 v24, 0xffff, v14
	v_and_or_b32 v1, 0xffe, v11, v1
	v_sub_nc_u32_e32 v11, 0x3f1, v19
	v_cvt_f64_f32_e32 v[7:8], v7
	ds_load_2addr_b32 v[13:14], v18 offset0:120 offset1:246
	s_wait_alu 0xfffd
	v_cndmask_b32_e32 v18, v20, v16, vcc_lo
	v_or_b32_e32 v23, 0x1000, v1
	v_med3_i32 v11, v11, 0, 13
	v_add_co_u32 v5, vcc_lo, v5, s4
	s_wait_alu 0xfffd
	v_add_co_ci_u32_e32 v6, vcc_lo, s5, v6, vcc_lo
	s_delay_alu instid0(VALU_DEP_3) | instskip(SKIP_3) | instid1(VALU_DEP_4)
	v_lshrrev_b32_e32 v20, v11, v23
	v_and_b32_e32 v25, 7, v18
	v_lshl_or_b32 v24, v15, 16, v24
	v_add_co_u32 v15, vcc_lo, v5, s2
	v_lshlrev_b32_e32 v11, v11, v20
	s_wait_alu 0xfffd
	v_add_co_ci_u32_e32 v16, vcc_lo, s3, v6, vcc_lo
	v_cmp_lt_i32_e32 vcc_lo, 5, v25
	v_cmp_eq_u32_e64 s0, 3, v25
	v_lshrrev_b32_e32 v18, 2, v18
	v_cmp_ne_u32_e64 s1, v11, v23
	v_add_nc_u32_e32 v23, 0xfffffc10, v19
	s_wait_dscnt 0x0
	v_lshrrev_b32_e32 v25, 16, v13
	s_or_b32 vcc_lo, s0, vcc_lo
	global_store_b32 v[5:6], v21, off
	global_store_b32 v[15:16], v24, off
	s_wait_alu 0xfffe
	v_add_co_ci_u32_e32 v18, vcc_lo, 0, v18, vcc_lo
	v_cndmask_b32_e64 v11, 0, 1, s1
	v_cmp_ne_u32_e32 vcc_lo, 0, v9
	v_lshl_or_b32 v19, v23, 12, v1
	v_and_or_b32 v3, 0x1ff, v4, v3
	v_bfe_u32 v28, v4, 20, 11
	v_or_b32_e32 v11, v20, v11
	v_mul_f16_e32 v20, v60, v25
	s_wait_alu 0xfffd
	v_cndmask_b32_e64 v9, 0, 1, vcc_lo
	v_cmp_gt_i32_e32 vcc_lo, 1, v23
	v_lshrrev_b32_e32 v27, 8, v4
	v_lshrrev_b32_e32 v24, 16, v12
	v_fmac_f16_e32 v20, v58, v13
	v_mul_f64_e32 v[7:8], s[8:9], v[7:8]
	s_wait_alu 0xfffd
	v_cndmask_b32_e32 v11, v19, v11, vcc_lo
	v_cmp_gt_i32_e32 vcc_lo, 31, v22
	v_lshl_or_b32 v9, v9, 9, 0x7c00
	s_wait_alu 0xfffd
	v_cndmask_b32_e32 v26, 0x7c00, v18, vcc_lo
	v_cvt_f32_f16_e32 v18, v20
	v_cmp_ne_u32_e32 vcc_lo, 0, v3
	v_and_b32_e32 v20, 7, v11
	v_lshrrev_b32_e32 v11, 2, v11
	s_delay_alu instid0(VALU_DEP_4) | instskip(SKIP_4) | instid1(VALU_DEP_3)
	v_cvt_f64_f32_e32 v[18:19], v18
	s_wait_alu 0xfffd
	v_cndmask_b32_e64 v3, 0, 1, vcc_lo
	v_cmp_eq_u32_e32 vcc_lo, 0x40f, v22
	v_cmp_eq_u32_e64 s0, 3, v20
	v_and_or_b32 v3, 0xffe, v27, v3
	s_wait_alu 0xfffd
	v_cndmask_b32_e32 v22, v26, v9, vcc_lo
	v_cmp_lt_i32_e32 vcc_lo, 5, v20
	v_lshrrev_b32_e32 v26, 16, v10
	v_sub_nc_u32_e32 v9, 0x3f1, v28
	v_mul_f16_e32 v10, v60, v13
	v_or_b32_e32 v13, 0x1000, v3
	s_or_b32 vcc_lo, s0, vcc_lo
	v_and_or_b32 v22, 0x8000, v26, v22
	v_med3_i32 v20, v9, 0, 13
	v_fma_f16 v9, v58, v25, -v10
	s_wait_alu 0xfffe
	v_add_co_ci_u32_e32 v10, vcc_lo, 0, v11, vcc_lo
	v_cmp_ne_u32_e32 vcc_lo, 0, v1
	v_lshrrev_b32_e32 v11, v20, v13
	v_cvt_f32_f16_e32 v9, v9
	v_and_b32_e32 v22, 0xffff, v22
	s_wait_alu 0xfffd
	v_cndmask_b32_e64 v1, 0, 1, vcc_lo
	v_cmp_gt_i32_e32 vcc_lo, 31, v23
	v_lshlrev_b32_e32 v20, v20, v11
	v_lshrrev_b32_e32 v26, 8, v8
	s_delay_alu instid0(VALU_DEP_4)
	v_lshl_or_b32 v1, v1, 9, 0x7c00
	s_wait_alu 0xfffd
	v_cndmask_b32_e32 v25, 0x7c00, v10, vcc_lo
	v_cvt_f64_f32_e32 v[9:10], v9
	v_cmp_eq_u32_e32 vcc_lo, 0x40f, v23
	s_wait_alu 0xfffd
	s_delay_alu instid0(VALU_DEP_3)
	v_cndmask_b32_e32 v23, v25, v1, vcc_lo
	v_and_or_b32 v1, 0x1ff, v8, v7
	v_cmp_ne_u32_e32 vcc_lo, v20, v13
	v_lshrrev_b32_e32 v7, 16, v2
	v_add_nc_u32_e32 v20, 0xfffffc10, v28
	s_wait_alu 0xfffd
	v_cndmask_b32_e64 v13, 0, 1, vcc_lo
	v_cmp_ne_u32_e32 vcc_lo, 0, v1
	v_mul_f64_e32 v[1:2], s[8:9], v[18:19]
	v_bfe_u32 v18, v8, 20, 11
	v_and_or_b32 v7, 0x8000, v7, v23
	v_or_b32_e32 v11, v11, v13
	s_wait_alu 0xfffd
	v_cndmask_b32_e64 v25, 0, 1, vcc_lo
	v_lshl_or_b32 v13, v20, 12, v3
	v_sub_nc_u32_e32 v23, 0x3f1, v18
	v_cmp_gt_i32_e32 vcc_lo, 1, v20
	v_lshl_or_b32 v7, v7, 16, v22
	v_and_or_b32 v19, 0xffe, v26, v25
	v_add_nc_u32_e32 v18, 0xfffffc10, v18
	v_med3_i32 v23, v23, 0, 13
	s_wait_alu 0xfffd
	v_cndmask_b32_e32 v11, v13, v11, vcc_lo
	v_add_co_u32 v5, vcc_lo, v15, s4
	v_or_b32_e32 v13, 0x1000, v19
	s_wait_alu 0xfffd
	v_add_co_ci_u32_e32 v6, vcc_lo, s5, v16, vcc_lo
	v_and_b32_e32 v21, 7, v11
	v_lshrrev_b32_e32 v11, 2, v11
	v_lshrrev_b32_e32 v22, v23, v13
	v_mul_f16_e32 v16, v59, v24
	v_lshrrev_b32_e32 v8, 16, v8
	v_cmp_lt_i32_e32 vcc_lo, 5, v21
	v_cmp_eq_u32_e64 s0, 3, v21
	v_lshlrev_b32_e32 v15, v23, v22
	v_mul_f64_e32 v[9:10], s[8:9], v[9:10]
	v_fmac_f16_e32 v16, v57, v12
	v_lshl_or_b32 v21, v18, 12, v19
	s_or_b32 vcc_lo, s0, vcc_lo
	v_cmp_ne_u32_e64 s1, v15, v13
	s_wait_alu 0xfffe
	v_add_co_ci_u32_e32 v11, vcc_lo, 0, v11, vcc_lo
	v_cmp_ne_u32_e32 vcc_lo, 0, v3
	v_cvt_f32_f16_e32 v15, v16
	s_wait_alu 0xf1ff
	v_cndmask_b32_e64 v13, 0, 1, s1
	v_mul_f16_e32 v12, v59, v12
	global_store_b32 v[5:6], v7, off
	v_and_or_b32 v1, 0x1ff, v2, v1
	s_wait_alu 0xfffd
	v_cndmask_b32_e64 v3, 0, 1, vcc_lo
	v_or_b32_e32 v13, v22, v13
	v_cmp_gt_i32_e32 vcc_lo, 1, v18
	v_cvt_f64_f32_e32 v[15:16], v15
	v_bfe_u32 v22, v2, 20, 11
	v_lshl_or_b32 v3, v3, 9, 0x7c00
	s_wait_alu 0xfffd
	v_cndmask_b32_e32 v13, v21, v13, vcc_lo
	v_cmp_ne_u32_e32 vcc_lo, 0, v1
	v_lshrrev_b32_e32 v21, 8, v2
	v_lshrrev_b32_e32 v2, 16, v2
	s_delay_alu instid0(VALU_DEP_4) | instskip(SKIP_3) | instid1(VALU_DEP_3)
	v_and_b32_e32 v23, 7, v13
	s_wait_alu 0xfffd
	v_cndmask_b32_e64 v1, 0, 1, vcc_lo
	v_cmp_gt_i32_e32 vcc_lo, 31, v20
	v_cmp_eq_u32_e64 s0, 3, v23
	s_delay_alu instid0(VALU_DEP_3)
	v_and_or_b32 v1, 0xffe, v21, v1
	s_wait_alu 0xfffd
	v_cndmask_b32_e32 v11, 0x7c00, v11, vcc_lo
	v_sub_nc_u32_e32 v21, 0x3f1, v22
	v_cmp_eq_u32_e32 vcc_lo, 0x40f, v20
	v_add_nc_u32_e32 v22, 0xfffffc10, v22
	v_and_or_b32 v9, 0x1ff, v10, v9
	s_wait_alu 0xfffd
	v_cndmask_b32_e32 v20, v11, v3, vcc_lo
	v_or_b32_e32 v3, 0x1000, v1
	v_med3_i32 v11, v21, 0, 13
	v_cmp_lt_i32_e32 vcc_lo, 5, v23
	v_lshrrev_b32_e32 v21, 16, v4
	v_lshrrev_b32_e32 v4, 2, v13
	s_delay_alu instid0(VALU_DEP_4) | instskip(SKIP_1) | instid1(VALU_DEP_3)
	v_lshrrev_b32_e32 v13, v11, v3
	s_or_b32 vcc_lo, s0, vcc_lo
	v_and_or_b32 v7, 0x8000, v21, v20
	s_wait_alu 0xfffe
	v_add_co_ci_u32_e32 v23, vcc_lo, 0, v4, vcc_lo
	v_lshlrev_b32_e32 v4, v11, v13
	v_cmp_ne_u32_e32 vcc_lo, 0, v9
	v_fma_f16 v11, v57, v24, -v12
	v_lshrrev_b32_e32 v12, 8, v10
	v_bfe_u32 v24, v10, 20, 11
	v_lshrrev_b32_e32 v20, 16, v14
	s_wait_alu 0xfffd
	v_cndmask_b32_e64 v9, 0, 1, vcc_lo
	v_cmp_ne_u32_e32 vcc_lo, v4, v3
	v_mul_f64_e32 v[3:4], s[8:9], v[15:16]
	v_sub_nc_u32_e32 v26, 0x3f1, v24
	v_cvt_f32_f16_e32 v11, v11
	v_and_or_b32 v9, 0xffe, v12, v9
	s_wait_alu 0xfffd
	v_cndmask_b32_e64 v25, 0, 1, vcc_lo
	v_cmp_ne_u32_e32 vcc_lo, 0, v19
	v_lshl_or_b32 v16, v22, 12, v1
	v_cvt_f64_f32_e32 v[11:12], v11
	v_or_b32_e32 v19, 0x1000, v9
	v_or_b32_e32 v13, v13, v25
	s_wait_alu 0xfffd
	v_cndmask_b32_e64 v15, 0, 1, vcc_lo
	v_cmp_gt_i32_e32 vcc_lo, 31, v18
	v_med3_i32 v25, v26, 0, 13
	s_delay_alu instid0(VALU_DEP_3)
	v_lshl_or_b32 v15, v15, 9, 0x7c00
	s_wait_alu 0xfffd
	v_cndmask_b32_e32 v23, 0x7c00, v23, vcc_lo
	v_cmp_gt_i32_e32 vcc_lo, 1, v22
	s_wait_alu 0xfffd
	v_cndmask_b32_e32 v13, v16, v13, vcc_lo
	v_lshrrev_b32_e32 v16, v25, v19
	v_cmp_eq_u32_e32 vcc_lo, 0x40f, v18
	s_wait_alu 0xfffd
	s_delay_alu instid0(VALU_DEP_3) | instskip(NEXT) | instid1(VALU_DEP_3)
	v_dual_cndmask_b32 v15, v23, v15 :: v_dual_and_b32 v18, 7, v13
	v_lshlrev_b32_e32 v23, v25, v16
	s_delay_alu instid0(VALU_DEP_2) | instskip(NEXT) | instid1(VALU_DEP_3)
	v_cmp_lt_i32_e32 vcc_lo, 5, v18
	v_and_or_b32 v15, 0x8000, v8, v15
	s_delay_alu instid0(VALU_DEP_3)
	v_cmp_ne_u32_e64 s0, v23, v19
	v_add_nc_u32_e32 v19, 0xfffffc10, v24
	v_and_or_b32 v3, 0x1ff, v4, v3
	v_lshrrev_b32_e32 v21, 8, v4
	s_wait_alu 0xf1ff
	v_cndmask_b32_e64 v8, 0, 1, s0
	v_cmp_eq_u32_e64 s0, 3, v18
	v_and_b32_e32 v18, 0xffff, v7
	v_lshrrev_b32_e32 v7, 2, v13
	v_lshl_or_b32 v13, v19, 12, v9
	v_or_b32_e32 v8, v16, v8
	s_or_b32 vcc_lo, s0, vcc_lo
	v_bfe_u32 v23, v4, 20, 11
	s_wait_alu 0xfffe
	v_add_co_ci_u32_e32 v16, vcc_lo, 0, v7, vcc_lo
	v_cmp_ne_u32_e32 vcc_lo, 0, v1
	v_lshrrev_b32_e32 v4, 16, v4
	s_wait_alu 0xfffd
	v_cndmask_b32_e64 v1, 0, 1, vcc_lo
	v_cmp_gt_i32_e32 vcc_lo, 1, v19
	s_delay_alu instid0(VALU_DEP_2)
	v_lshl_or_b32 v1, v1, 9, 0x7c00
	s_wait_alu 0xfffd
	v_cndmask_b32_e32 v13, v13, v8, vcc_lo
	v_cmp_gt_i32_e32 vcc_lo, 31, v22
	v_mul_f64_e32 v[7:8], s[8:9], v[11:12]
	v_mul_f16_e32 v12, v56, v20
	s_wait_alu 0xfffd
	v_cndmask_b32_e32 v11, 0x7c00, v16, vcc_lo
	v_cmp_ne_u32_e32 vcc_lo, 0, v3
	s_delay_alu instid0(VALU_DEP_3)
	v_fmac_f16_e32 v12, v55, v14
	v_and_b32_e32 v16, 7, v13
	v_lshrrev_b32_e32 v13, 2, v13
	s_wait_alu 0xfffd
	v_cndmask_b32_e64 v3, 0, 1, vcc_lo
	v_cmp_eq_u32_e32 vcc_lo, 0x40f, v22
	v_cmp_eq_u32_e64 s0, 3, v16
	s_delay_alu instid0(VALU_DEP_3)
	v_and_or_b32 v3, 0xffe, v21, v3
	s_wait_alu 0xfffd
	v_cndmask_b32_e32 v1, v11, v1, vcc_lo
	v_cvt_f32_f16_e32 v11, v12
	v_cmp_lt_i32_e32 vcc_lo, 5, v16
	v_sub_nc_u32_e32 v21, 0x3f1, v23
	v_or_b32_e32 v16, 0x1000, v3
	v_and_or_b32 v24, 0x8000, v2, v1
	v_cvt_f64_f32_e32 v[11:12], v11
	s_or_b32 vcc_lo, s0, vcc_lo
	v_med3_i32 v21, v21, 0, 13
	s_wait_alu 0xfffe
	v_add_co_ci_u32_e32 v13, vcc_lo, 0, v13, vcc_lo
	v_cmp_ne_u32_e32 vcc_lo, 0, v9
	v_mul_f16_e32 v1, v56, v14
	v_lshrrev_b32_e32 v22, v21, v16
	v_lshrrev_b32_e32 v14, 16, v10
	v_lshl_or_b32 v18, v15, 16, v18
	s_wait_alu 0xfffd
	v_cndmask_b32_e64 v9, 0, 1, vcc_lo
	v_cmp_gt_i32_e32 vcc_lo, 31, v19
	v_lshlrev_b32_e32 v2, v21, v22
	v_fma_f16 v1, v55, v20, -v1
	s_delay_alu instid0(VALU_DEP_4)
	v_lshl_or_b32 v9, v9, 9, 0x7c00
	s_wait_alu 0xfffd
	v_cndmask_b32_e32 v13, 0x7c00, v13, vcc_lo
	v_cmp_eq_u32_e32 vcc_lo, 0x40f, v19
	v_and_or_b32 v7, 0x1ff, v8, v7
	v_cvt_f32_f16_e32 v1, v1
	v_add_nc_u32_e32 v19, 0xfffffc10, v23
	v_lshrrev_b32_e32 v10, 8, v8
	s_wait_alu 0xfffd
	v_cndmask_b32_e32 v13, v13, v9, vcc_lo
	v_cmp_ne_u32_e32 vcc_lo, v2, v16
	v_cvt_f64_f32_e32 v[1:2], v1
	v_bfe_u32 v16, v8, 20, 11
	v_lshl_or_b32 v21, v19, 12, v3
	v_and_or_b32 v13, 0x8000, v14, v13
	s_wait_alu 0xfffd
	v_cndmask_b32_e64 v9, 0, 1, vcc_lo
	v_cmp_ne_u32_e32 vcc_lo, 0, v7
	v_and_b32_e32 v14, 0xffff, v24
	s_delay_alu instid0(VALU_DEP_3)
	v_or_b32_e32 v20, v22, v9
	s_wait_alu 0xfffd
	v_cndmask_b32_e64 v7, 0, 1, vcc_lo
	v_cmp_gt_i32_e32 vcc_lo, 1, v19
	v_lshl_or_b32 v23, v13, 16, v14
	v_mul_f64_e32 v[11:12], s[8:9], v[11:12]
	s_delay_alu instid0(VALU_DEP_4)
	v_and_or_b32 v7, 0xffe, v10, v7
	ds_load_2addr_b32 v[9:10], v17 offset0:104 offset1:230
	v_sub_nc_u32_e32 v17, 0x3f1, v16
	s_wait_alu 0xfffd
	v_cndmask_b32_e32 v20, v21, v20, vcc_lo
	v_add_co_u32 v5, vcc_lo, v5, s2
	v_or_b32_e32 v21, 0x1000, v7
	v_med3_i32 v17, v17, 0, 13
	s_delay_alu instid0(VALU_DEP_4)
	v_and_b32_e32 v15, 7, v20
	s_wait_alu 0xfffd
	v_add_co_ci_u32_e32 v6, vcc_lo, s3, v6, vcc_lo
	v_lshrrev_b32_e32 v14, 2, v20
	v_add_nc_u32_e32 v20, 0xfffffc10, v16
	v_lshrrev_b32_e32 v22, v17, v21
	v_cmp_lt_i32_e32 vcc_lo, 5, v15
	v_cmp_eq_u32_e64 s0, 3, v15
	s_delay_alu instid0(VALU_DEP_4) | instskip(NEXT) | instid1(VALU_DEP_4)
	v_lshl_or_b32 v16, v20, 12, v7
	v_lshlrev_b32_e32 v13, v17, v22
	s_delay_alu instid0(VALU_DEP_3)
	s_or_b32 vcc_lo, s0, vcc_lo
	s_wait_dscnt 0x0
	v_lshrrev_b32_e32 v17, 16, v9
	s_wait_alu 0xfffe
	v_add_co_ci_u32_e32 v14, vcc_lo, 0, v14, vcc_lo
	v_cmp_ne_u32_e64 s1, v13, v21
	v_cmp_ne_u32_e32 vcc_lo, 0, v3
	v_mul_f16_e32 v15, v54, v17
	v_mul_f64_e32 v[1:2], s[8:9], v[1:2]
	s_wait_alu 0xf1ff
	v_cndmask_b32_e64 v13, 0, 1, s1
	s_wait_alu 0xfffd
	v_cndmask_b32_e64 v3, 0, 1, vcc_lo
	v_fmac_f16_e32 v15, v53, v9
	v_cmp_gt_i32_e32 vcc_lo, 1, v20
	v_or_b32_e32 v13, v22, v13
	s_delay_alu instid0(VALU_DEP_4) | instskip(SKIP_2) | instid1(VALU_DEP_3)
	v_lshl_or_b32 v3, v3, 9, 0x7c00
	v_and_or_b32 v11, 0x1ff, v12, v11
	s_wait_alu 0xfffd
	v_cndmask_b32_e32 v21, v16, v13, vcc_lo
	v_cvt_f32_f16_e32 v13, v15
	v_cmp_gt_i32_e32 vcc_lo, 31, v19
	v_cmp_ne_u32_e64 s0, 0, v11
	s_wait_alu 0xfffd
	v_cndmask_b32_e32 v22, 0x7c00, v14, vcc_lo
	v_cvt_f64_f32_e32 v[13:14], v13
	v_add_co_u32 v15, vcc_lo, v5, s4
	s_wait_alu 0xfffd
	v_add_co_ci_u32_e32 v16, vcc_lo, s5, v6, vcc_lo
	v_cmp_eq_u32_e32 vcc_lo, 0x40f, v19
	v_and_b32_e32 v24, 7, v21
	s_wait_alu 0xf1ff
	v_cndmask_b32_e64 v11, 0, 1, s0
	v_lshrrev_b32_e32 v21, 2, v21
	v_lshrrev_b32_e32 v19, 8, v12
	s_wait_alu 0xfffd
	v_cndmask_b32_e32 v3, v22, v3, vcc_lo
	v_cmp_lt_i32_e32 vcc_lo, 5, v24
	v_cmp_eq_u32_e64 s0, 3, v24
	v_bfe_u32 v22, v12, 20, 11
	v_and_or_b32 v11, 0xffe, v19, v11
	v_and_or_b32 v25, 0x8000, v4, v3
	global_store_b32 v[5:6], v18, off
	global_store_b32 v[15:16], v23, off
	s_or_b32 vcc_lo, s0, vcc_lo
	v_sub_nc_u32_e32 v19, 0x3f1, v22
	s_wait_alu 0xfffe
	v_add_co_ci_u32_e32 v21, vcc_lo, 0, v21, vcc_lo
	v_cmp_ne_u32_e32 vcc_lo, 0, v7
	v_or_b32_e32 v24, 0x1000, v11
	v_med3_i32 v19, v19, 0, 13
	v_and_or_b32 v1, 0x1ff, v2, v1
	v_lshrrev_b32_e32 v12, 16, v12
	s_wait_alu 0xfffd
	v_cndmask_b32_e64 v7, 0, 1, vcc_lo
	v_cmp_gt_i32_e32 vcc_lo, 31, v20
	v_lshrrev_b32_e32 v26, v19, v24
	s_delay_alu instid0(VALU_DEP_3) | instskip(SKIP_4) | instid1(VALU_DEP_2)
	v_lshl_or_b32 v7, v7, 9, 0x7c00
	s_wait_alu 0xfffd
	v_cndmask_b32_e32 v21, 0x7c00, v21, vcc_lo
	v_cmp_eq_u32_e32 vcc_lo, 0x40f, v20
	s_wait_alu 0xfffd
	v_dual_cndmask_b32 v20, v21, v7 :: v_dual_lshlrev_b32 v7, v19, v26
	v_cmp_ne_u32_e32 vcc_lo, 0, v1
	v_lshrrev_b32_e32 v21, 16, v8
	v_mul_f16_e32 v8, v54, v9
	v_lshrrev_b32_e32 v9, 8, v2
	v_bfe_u32 v19, v2, 20, 11
	s_wait_alu 0xfffd
	v_cndmask_b32_e64 v1, 0, 1, vcc_lo
	v_mul_f64_e32 v[3:4], s[8:9], v[13:14]
	v_cmp_ne_u32_e32 vcc_lo, v7, v24
	v_fma_f16 v8, v53, v17, -v8
	v_add_nc_u32_e32 v17, 0xfffffc10, v22
	v_and_or_b32 v1, 0xffe, v9, v1
	v_sub_nc_u32_e32 v9, 0x3f1, v19
	s_wait_alu 0xfffd
	v_cndmask_b32_e64 v7, 0, 1, vcc_lo
	v_cvt_f32_f16_e32 v8, v8
	v_lshl_or_b32 v14, v17, 12, v11
	v_or_b32_e32 v22, 0x1000, v1
	v_med3_i32 v9, v9, 0, 13
	v_or_b32_e32 v13, v26, v7
	v_cmp_gt_i32_e32 vcc_lo, 1, v17
	v_cvt_f64_f32_e32 v[7:8], v8
	v_and_or_b32 v20, 0x8000, v21, v20
	v_and_b32_e32 v21, 0xffff, v25
	v_cmp_eq_u32_e64 s1, 0x40f, v17
	s_wait_alu 0xfffd
	v_cndmask_b32_e32 v13, v14, v13, vcc_lo
	v_lshrrev_b32_e32 v14, v9, v22
	v_add_co_u32 v5, vcc_lo, v15, s2
	v_lshl_or_b32 v18, v20, 16, v21
	s_delay_alu instid0(VALU_DEP_4) | instskip(NEXT) | instid1(VALU_DEP_4)
	v_and_b32_e32 v20, 7, v13
	v_lshlrev_b32_e32 v9, v9, v14
	v_lshrrev_b32_e32 v15, 16, v0
	s_wait_alu 0xfffd
	v_add_co_ci_u32_e32 v6, vcc_lo, s3, v16, vcc_lo
	v_cmp_lt_i32_e32 vcc_lo, 5, v20
	v_cmp_ne_u32_e64 s0, v9, v22
	v_lshrrev_b32_e32 v13, 2, v13
	v_add_nc_u32_e32 v16, 0xfffffc10, v19
	v_mul_f16_e32 v19, v52, v15
	v_lshrrev_b32_e32 v2, 16, v2
	s_wait_alu 0xf1ff
	v_cndmask_b32_e64 v9, 0, 1, s0
	v_cmp_eq_u32_e64 s0, 3, v20
	v_fmac_f16_e32 v19, v51, v0
	s_delay_alu instid0(VALU_DEP_3) | instskip(NEXT) | instid1(VALU_DEP_3)
	v_or_b32_e32 v9, v14, v9
	s_or_b32 vcc_lo, s0, vcc_lo
	v_lshl_or_b32 v14, v16, 12, v1
	s_wait_alu 0xfffe
	v_add_co_ci_u32_e32 v20, vcc_lo, 0, v13, vcc_lo
	v_and_or_b32 v3, 0x1ff, v4, v3
	v_cmp_gt_i32_e32 vcc_lo, 1, v16
	v_cvt_f32_f16_e32 v13, v19
	v_lshrrev_b32_e32 v19, 8, v4
	v_bfe_u32 v21, v4, 20, 11
	v_lshrrev_b32_e32 v4, 16, v4
	s_wait_alu 0xfffd
	v_cndmask_b32_e32 v9, v14, v9, vcc_lo
	v_cmp_ne_u32_e32 vcc_lo, 0, v3
	v_cvt_f64_f32_e32 v[13:14], v13
	v_mul_f64_e32 v[7:8], s[8:9], v[7:8]
	s_delay_alu instid0(VALU_DEP_4)
	v_and_b32_e32 v22, 7, v9
	s_wait_alu 0xfffd
	v_cndmask_b32_e64 v3, 0, 1, vcc_lo
	v_cmp_ne_u32_e32 vcc_lo, 0, v11
	v_lshrrev_b32_e32 v9, 2, v9
	v_cmp_eq_u32_e64 s0, 3, v22
	s_delay_alu instid0(VALU_DEP_4)
	v_and_or_b32 v19, 0xffe, v19, v3
	s_wait_alu 0xfffd
	v_cndmask_b32_e64 v11, 0, 1, vcc_lo
	v_cmp_gt_i32_e32 vcc_lo, 31, v17
	v_sub_nc_u32_e32 v3, 0x3f1, v21
	v_or_b32_e32 v23, 0x1000, v19
	s_delay_alu instid0(VALU_DEP_4) | instskip(SKIP_4) | instid1(VALU_DEP_3)
	v_lshl_or_b32 v11, v11, 9, 0x7c00
	s_wait_alu 0xfffd
	v_cndmask_b32_e32 v20, 0x7c00, v20, vcc_lo
	v_cmp_lt_i32_e32 vcc_lo, 5, v22
	v_med3_i32 v3, v3, 0, 13
	v_cndmask_b32_e64 v11, v20, v11, s1
	s_or_b32 vcc_lo, s0, vcc_lo
	s_delay_alu instid0(VALU_DEP_2)
	v_lshrrev_b32_e32 v17, v3, v23
	s_wait_alu 0xfffe
	v_add_co_ci_u32_e32 v9, vcc_lo, 0, v9, vcc_lo
	v_cmp_ne_u32_e32 vcc_lo, 0, v1
	v_and_or_b32 v11, 0x8000, v12, v11
	v_lshlrev_b32_e32 v3, v3, v17
	v_add_nc_u32_e32 v20, 0xfffffc10, v21
	v_mul_f16_e32 v12, v52, v0
	s_wait_alu 0xfffd
	v_cndmask_b32_e64 v1, 0, 1, vcc_lo
	v_cmp_gt_i32_e32 vcc_lo, 31, v16
	v_and_b32_e32 v11, 0xffff, v11
	v_fma_f16 v12, v51, v15, -v12
	s_delay_alu instid0(VALU_DEP_4)
	v_lshl_or_b32 v1, v1, 9, 0x7c00
	s_wait_alu 0xfffd
	v_cndmask_b32_e32 v9, 0x7c00, v9, vcc_lo
	v_cmp_ne_u32_e32 vcc_lo, v3, v23
	v_and_or_b32 v7, 0x1ff, v8, v7
	s_wait_alu 0xfffd
	v_cndmask_b32_e64 v3, 0, 1, vcc_lo
	v_cmp_eq_u32_e32 vcc_lo, 0x40f, v16
	v_lshrrev_b32_e32 v16, 16, v10
	s_delay_alu instid0(VALU_DEP_3)
	v_or_b32_e32 v3, v17, v3
	s_wait_alu 0xfffd
	v_cndmask_b32_e32 v9, v9, v1, vcc_lo
	v_mul_f64_e32 v[0:1], s[8:9], v[13:14]
	v_lshl_or_b32 v13, v20, 12, v19
	v_cmp_gt_i32_e32 vcc_lo, 1, v20
	v_bfe_u32 v14, v8, 20, 11
	v_and_or_b32 v9, 0x8000, v2, v9
	v_mul_f16_e32 v21, v50, v16
	s_wait_alu 0xfffd
	v_cndmask_b32_e32 v13, v13, v3, vcc_lo
	v_cmp_ne_u32_e32 vcc_lo, 0, v7
	v_cvt_f32_f16_e32 v3, v12
	v_lshrrev_b32_e32 v12, 8, v8
	v_fmac_f16_e32 v21, v49, v10
	v_and_b32_e32 v15, 7, v13
	s_wait_alu 0xfffd
	v_cndmask_b32_e64 v7, 0, 1, vcc_lo
	v_cvt_f64_f32_e32 v[2:3], v3
	v_mul_f16_e32 v10, v50, v10
	v_cmp_lt_i32_e32 vcc_lo, 5, v15
	s_delay_alu instid0(VALU_DEP_4)
	v_and_or_b32 v7, 0xffe, v12, v7
	v_sub_nc_u32_e32 v12, 0x3f1, v14
	v_cmp_eq_u32_e64 s0, 3, v15
	v_lshl_or_b32 v15, v9, 16, v11
	v_lshrrev_b32_e32 v9, 2, v13
	v_or_b32_e32 v17, 0x1000, v7
	v_med3_i32 v12, v12, 0, 13
	s_or_b32 vcc_lo, s0, vcc_lo
	v_fma_f16 v10, v49, v16, -v10
	s_wait_alu 0xfffe
	v_add_co_ci_u32_e32 v9, vcc_lo, 0, v9, vcc_lo
	v_lshrrev_b32_e32 v13, v12, v17
	v_cmp_ne_u32_e32 vcc_lo, 0, v19
	v_cvt_f32_f16_e32 v10, v10
	s_delay_alu instid0(VALU_DEP_3)
	v_lshlrev_b32_e32 v19, v12, v13
	s_wait_alu 0xfffd
	v_cndmask_b32_e64 v11, 0, 1, vcc_lo
	v_cvt_f32_f16_e32 v12, v21
	v_cmp_gt_i32_e32 vcc_lo, 31, v20
	v_and_or_b32 v0, 0x1ff, v1, v0
	s_delay_alu instid0(VALU_DEP_4) | instskip(NEXT) | instid1(VALU_DEP_4)
	v_lshl_or_b32 v22, v11, 9, 0x7c00
	v_cvt_f64_f32_e32 v[11:12], v12
	s_wait_alu 0xfffd
	v_cndmask_b32_e32 v21, 0x7c00, v9, vcc_lo
	v_cmp_ne_u32_e32 vcc_lo, v19, v17
	v_add_nc_u32_e32 v17, 0xfffffc10, v14
	v_lshrrev_b32_e32 v14, 8, v1
	v_bfe_u32 v19, v1, 20, 11
	v_lshrrev_b32_e32 v1, 16, v1
	s_wait_alu 0xfffd
	v_cndmask_b32_e64 v9, 0, 1, vcc_lo
	v_cmp_ne_u32_e32 vcc_lo, 0, v0
	v_mul_f64_e32 v[2:3], s[8:9], v[2:3]
	s_delay_alu instid0(VALU_DEP_3) | instskip(SKIP_4) | instid1(VALU_DEP_3)
	v_or_b32_e32 v9, v13, v9
	s_wait_alu 0xfffd
	v_cndmask_b32_e64 v0, 0, 1, vcc_lo
	v_lshl_or_b32 v13, v17, 12, v7
	v_cmp_gt_i32_e32 vcc_lo, 1, v17
	v_and_or_b32 v0, 0xffe, v14, v0
	v_sub_nc_u32_e32 v14, 0x3f1, v19
	s_wait_alu 0xfffd
	v_cndmask_b32_e32 v16, v13, v9, vcc_lo
	v_cmp_eq_u32_e32 vcc_lo, 0x40f, v20
	v_cvt_f64_f32_e32 v[9:10], v10
	v_or_b32_e32 v23, 0x1000, v0
	v_med3_i32 v24, v14, 0, 13
	s_wait_alu 0xfffd
	v_dual_cndmask_b32 v20, v21, v22 :: v_dual_add_nc_u32 v19, 0xfffffc10, v19
	v_and_b32_e32 v21, 7, v16
	v_add_co_u32 v13, vcc_lo, v5, s4
	v_lshrrev_b32_e32 v22, v24, v23
	s_wait_alu 0xfffd
	v_add_co_ci_u32_e32 v14, vcc_lo, s5, v6, vcc_lo
	v_cmp_lt_i32_e32 vcc_lo, 5, v21
	v_cmp_eq_u32_e64 s0, 3, v21
	v_lshrrev_b32_e32 v16, 2, v16
	v_lshlrev_b32_e32 v24, v24, v22
	v_and_or_b32 v4, 0x8000, v4, v20
	v_mul_f64_e32 v[11:12], s[8:9], v[11:12]
	s_or_b32 vcc_lo, s0, vcc_lo
	v_lshl_or_b32 v21, v19, 12, v0
	s_wait_alu 0xfffe
	v_add_co_ci_u32_e32 v16, vcc_lo, 0, v16, vcc_lo
	v_cmp_ne_u32_e64 s1, v24, v23
	v_cmp_ne_u32_e32 vcc_lo, 0, v7
	v_and_b32_e32 v4, 0xffff, v4
	s_wait_alu 0xf1ff
	s_delay_alu instid0(VALU_DEP_3)
	v_cndmask_b32_e64 v20, 0, 1, s1
	s_wait_alu 0xfffd
	v_cndmask_b32_e64 v7, 0, 1, vcc_lo
	v_cmp_gt_i32_e32 vcc_lo, 31, v17
	v_and_or_b32 v2, 0x1ff, v3, v2
	v_or_b32_e32 v20, v22, v20
	s_delay_alu instid0(VALU_DEP_4)
	v_lshl_or_b32 v7, v7, 9, 0x7c00
	s_wait_alu 0xfffd
	v_cndmask_b32_e32 v16, 0x7c00, v16, vcc_lo
	v_cmp_gt_i32_e32 vcc_lo, 1, v19
	v_lshrrev_b32_e32 v22, 8, v3
	s_wait_alu 0xfffd
	v_cndmask_b32_e32 v20, v21, v20, vcc_lo
	v_cmp_eq_u32_e32 vcc_lo, 0x40f, v17
	v_lshrrev_b32_e32 v17, 16, v8
	s_wait_alu 0xfffd
	s_delay_alu instid0(VALU_DEP_3) | instskip(SKIP_3) | instid1(VALU_DEP_4)
	v_dual_cndmask_b32 v16, v16, v7 :: v_dual_and_b32 v21, 7, v20
	v_cmp_ne_u32_e32 vcc_lo, 0, v2
	v_mul_f64_e32 v[7:8], s[8:9], v[9:10]
	v_bfe_u32 v9, v3, 20, 11
	v_cmp_eq_u32_e64 s0, 3, v21
	v_and_or_b32 v10, 0x8000, v17, v16
	s_wait_alu 0xfffd
	v_cndmask_b32_e64 v2, 0, 1, vcc_lo
	v_cmp_lt_i32_e32 vcc_lo, 5, v21
	v_sub_nc_u32_e32 v16, 0x3f1, v9
	v_and_or_b32 v11, 0x1ff, v12, v11
	v_lshl_or_b32 v4, v10, 16, v4
	v_lshrrev_b32_e32 v10, 2, v20
	v_and_or_b32 v2, 0xffe, v22, v2
	s_or_b32 vcc_lo, s0, vcc_lo
	v_med3_i32 v16, v16, 0, 13
	v_lshrrev_b32_e32 v21, 8, v12
	s_wait_alu 0xfffe
	v_add_co_ci_u32_e32 v10, vcc_lo, 0, v10, vcc_lo
	v_or_b32_e32 v17, 0x1000, v2
	v_cmp_ne_u32_e32 vcc_lo, 0, v0
	v_bfe_u32 v22, v12, 20, 11
	v_add_nc_u32_e32 v9, 0xfffffc10, v9
	v_lshrrev_b32_e32 v3, 16, v3
	v_lshrrev_b32_e32 v20, v16, v17
	s_wait_alu 0xfffd
	v_cndmask_b32_e64 v0, 0, 1, vcc_lo
	v_cmp_gt_i32_e32 vcc_lo, 31, v19
	s_delay_alu instid0(VALU_DEP_3) | instskip(NEXT) | instid1(VALU_DEP_3)
	v_lshlrev_b32_e32 v16, v16, v20
	v_lshl_or_b32 v0, v0, 9, 0x7c00
	s_wait_alu 0xfffd
	v_cndmask_b32_e32 v10, 0x7c00, v10, vcc_lo
	v_cmp_ne_u32_e32 vcc_lo, 0, v11
	s_wait_alu 0xfffd
	v_cndmask_b32_e64 v11, 0, 1, vcc_lo
	v_cmp_ne_u32_e32 vcc_lo, v16, v17
	v_sub_nc_u32_e32 v17, 0x3f1, v22
	v_and_or_b32 v7, 0x1ff, v8, v7
	s_delay_alu instid0(VALU_DEP_4)
	v_and_or_b32 v11, 0xffe, v21, v11
	s_wait_alu 0xfffd
	v_cndmask_b32_e64 v16, 0, 1, vcc_lo
	v_cmp_eq_u32_e32 vcc_lo, 0x40f, v19
	v_med3_i32 v17, v17, 0, 13
	v_bfe_u32 v21, v8, 20, 11
	v_or_b32_e32 v19, 0x1000, v11
	s_wait_alu 0xfffd
	v_cndmask_b32_e32 v0, v10, v0, vcc_lo
	v_or_b32_e32 v10, v20, v16
	v_lshl_or_b32 v16, v9, 12, v2
	v_cmp_gt_i32_e32 vcc_lo, 1, v9
	v_lshrrev_b32_e32 v20, 8, v8
	v_and_or_b32 v0, 0x8000, v1, v0
	v_lshrrev_b32_e32 v8, 16, v8
	s_wait_alu 0xfffd
	v_cndmask_b32_e32 v10, v16, v10, vcc_lo
	v_lshrrev_b32_e32 v16, v17, v19
	v_cmp_ne_u32_e32 vcc_lo, 0, v7
	s_delay_alu instid0(VALU_DEP_3) | instskip(NEXT) | instid1(VALU_DEP_3)
	v_and_b32_e32 v23, 7, v10
	v_lshlrev_b32_e32 v17, v17, v16
	s_wait_alu 0xfffd
	v_cndmask_b32_e64 v7, 0, 1, vcc_lo
	v_lshrrev_b32_e32 v10, 2, v10
	v_cmp_lt_i32_e32 vcc_lo, 5, v23
	v_cmp_ne_u32_e64 s0, v17, v19
	s_delay_alu instid0(VALU_DEP_4)
	v_and_or_b32 v1, 0xffe, v20, v7
	v_sub_nc_u32_e32 v7, 0x3f1, v21
	v_add_nc_u32_e32 v20, 0xfffffc10, v22
	s_wait_alu 0xf1ff
	v_cndmask_b32_e64 v17, 0, 1, s0
	v_cmp_eq_u32_e64 s0, 3, v23
	v_or_b32_e32 v19, 0x1000, v1
	v_med3_i32 v7, v7, 0, 13
	v_lshl_or_b32 v22, v20, 12, v11
	v_or_b32_e32 v16, v16, v17
	s_or_b32 vcc_lo, s0, vcc_lo
	s_wait_alu 0xfffe
	v_add_co_ci_u32_e32 v10, vcc_lo, 0, v10, vcc_lo
	v_lshrrev_b32_e32 v17, v7, v19
	v_cmp_gt_i32_e32 vcc_lo, 1, v20
	s_wait_alu 0xfffd
	s_delay_alu instid0(VALU_DEP_2) | instskip(SKIP_3) | instid1(VALU_DEP_3)
	v_dual_cndmask_b32 v16, v22, v16 :: v_dual_lshlrev_b32 v7, v7, v17
	v_cmp_ne_u32_e32 vcc_lo, 0, v2
	s_wait_alu 0xfffd
	v_cndmask_b32_e64 v2, 0, 1, vcc_lo
	v_cmp_ne_u32_e32 vcc_lo, v7, v19
	v_add_nc_u32_e32 v19, 0xfffffc10, v21
	v_and_b32_e32 v21, 7, v16
	s_delay_alu instid0(VALU_DEP_4)
	v_lshl_or_b32 v2, v2, 9, 0x7c00
	s_wait_alu 0xfffd
	v_cndmask_b32_e64 v7, 0, 1, vcc_lo
	v_cmp_gt_i32_e32 vcc_lo, 31, v9
	v_cmp_gt_i32_e64 s1, 1, v19
	v_cmp_eq_u32_e64 s0, 3, v21
	s_delay_alu instid0(VALU_DEP_4)
	v_or_b32_e32 v7, v17, v7
	v_lshl_or_b32 v17, v19, 12, v1
	s_wait_alu 0xfffd
	v_cndmask_b32_e32 v10, 0x7c00, v10, vcc_lo
	v_cmp_lt_i32_e32 vcc_lo, 5, v21
	s_wait_alu 0xf1ff
	v_cndmask_b32_e64 v7, v17, v7, s1
	v_cmp_eq_u32_e64 s1, 0x40f, v9
	v_lshrrev_b32_e32 v9, 2, v16
	s_or_b32 vcc_lo, s0, vcc_lo
	s_delay_alu instid0(VALU_DEP_2)
	v_cndmask_b32_e64 v2, v10, v2, s1
	v_and_b32_e32 v10, 7, v7
	s_wait_alu 0xfffe
	v_add_co_ci_u32_e32 v9, vcc_lo, 0, v9, vcc_lo
	v_cmp_ne_u32_e32 vcc_lo, 0, v11
	v_lshrrev_b32_e32 v7, 2, v7
	v_cmp_eq_u32_e64 s0, 3, v10
	v_cmp_gt_i32_e64 s1, 31, v20
	v_and_or_b32 v2, 0x8000, v3, v2
	s_wait_alu 0xfffd
	v_cndmask_b32_e64 v11, 0, 1, vcc_lo
	v_cmp_lt_i32_e32 vcc_lo, 5, v10
	v_and_b32_e32 v3, 0xffff, v0
	s_wait_alu 0xf1ff
	v_cndmask_b32_e64 v9, 0x7c00, v9, s1
	v_lshl_or_b32 v10, v11, 9, 0x7c00
	s_or_b32 vcc_lo, s0, vcc_lo
	s_wait_alu 0xfffe
	v_add_co_ci_u32_e32 v7, vcc_lo, 0, v7, vcc_lo
	v_cmp_ne_u32_e32 vcc_lo, 0, v1
	s_wait_alu 0xfffd
	v_cndmask_b32_e64 v1, 0, 1, vcc_lo
	v_cmp_eq_u32_e32 vcc_lo, 0x40f, v20
	s_delay_alu instid0(VALU_DEP_2)
	v_lshl_or_b32 v1, v1, 9, 0x7c00
	s_wait_alu 0xfffd
	v_cndmask_b32_e32 v9, v9, v10, vcc_lo
	v_cmp_gt_i32_e32 vcc_lo, 31, v19
	v_lshrrev_b32_e32 v10, 16, v12
	s_wait_alu 0xfffd
	v_cndmask_b32_e32 v7, 0x7c00, v7, vcc_lo
	v_cmp_eq_u32_e32 vcc_lo, 0x40f, v19
	s_delay_alu instid0(VALU_DEP_3)
	v_and_or_b32 v9, 0x8000, v10, v9
	v_lshl_or_b32 v10, v2, 16, v3
	s_wait_alu 0xfffd
	v_cndmask_b32_e32 v7, v7, v1, vcc_lo
	v_add_co_u32 v0, vcc_lo, v13, s2
	s_wait_alu 0xfffd
	v_add_co_ci_u32_e32 v1, vcc_lo, s3, v14, vcc_lo
	s_delay_alu instid0(VALU_DEP_3) | instskip(SKIP_4) | instid1(VALU_DEP_3)
	v_and_or_b32 v7, 0x8000, v8, v7
	v_and_b32_e32 v8, 0xffff, v9
	v_add_co_u32 v2, vcc_lo, v0, s4
	s_wait_alu 0xfffd
	v_add_co_ci_u32_e32 v3, vcc_lo, s5, v1, vcc_lo
	v_lshl_or_b32 v9, v7, 16, v8
	s_delay_alu instid0(VALU_DEP_3) | instskip(SKIP_1) | instid1(VALU_DEP_3)
	v_add_co_u32 v7, vcc_lo, v2, s2
	s_wait_alu 0xfffd
	v_add_co_ci_u32_e32 v8, vcc_lo, s3, v3, vcc_lo
	global_store_b32 v[5:6], v18, off
	global_store_b32 v[13:14], v15, off
	;; [unrolled: 1-line block ×5, first 2 shown]
.LBB0_18:
	s_nop 0
	s_sendmsg sendmsg(MSG_DEALLOC_VGPRS)
	s_endpgm
	.section	.rodata,"a",@progbits
	.p2align	6, 0x0
	.amdhsa_kernel bluestein_single_back_len1764_dim1_half_op_CI_CI
		.amdhsa_group_segment_fixed_size 7056
		.amdhsa_private_segment_fixed_size 0
		.amdhsa_kernarg_size 104
		.amdhsa_user_sgpr_count 2
		.amdhsa_user_sgpr_dispatch_ptr 0
		.amdhsa_user_sgpr_queue_ptr 0
		.amdhsa_user_sgpr_kernarg_segment_ptr 1
		.amdhsa_user_sgpr_dispatch_id 0
		.amdhsa_user_sgpr_private_segment_size 0
		.amdhsa_wavefront_size32 1
		.amdhsa_uses_dynamic_stack 0
		.amdhsa_enable_private_segment 0
		.amdhsa_system_sgpr_workgroup_id_x 1
		.amdhsa_system_sgpr_workgroup_id_y 0
		.amdhsa_system_sgpr_workgroup_id_z 0
		.amdhsa_system_sgpr_workgroup_info 0
		.amdhsa_system_vgpr_workitem_id 0
		.amdhsa_next_free_vgpr 214
		.amdhsa_next_free_sgpr 20
		.amdhsa_reserve_vcc 1
		.amdhsa_float_round_mode_32 0
		.amdhsa_float_round_mode_16_64 0
		.amdhsa_float_denorm_mode_32 3
		.amdhsa_float_denorm_mode_16_64 3
		.amdhsa_fp16_overflow 0
		.amdhsa_workgroup_processor_mode 1
		.amdhsa_memory_ordered 1
		.amdhsa_forward_progress 0
		.amdhsa_round_robin_scheduling 0
		.amdhsa_exception_fp_ieee_invalid_op 0
		.amdhsa_exception_fp_denorm_src 0
		.amdhsa_exception_fp_ieee_div_zero 0
		.amdhsa_exception_fp_ieee_overflow 0
		.amdhsa_exception_fp_ieee_underflow 0
		.amdhsa_exception_fp_ieee_inexact 0
		.amdhsa_exception_int_div_zero 0
	.end_amdhsa_kernel
	.text
.Lfunc_end0:
	.size	bluestein_single_back_len1764_dim1_half_op_CI_CI, .Lfunc_end0-bluestein_single_back_len1764_dim1_half_op_CI_CI
                                        ; -- End function
	.section	.AMDGPU.csdata,"",@progbits
; Kernel info:
; codeLenInByte = 27176
; NumSgprs: 22
; NumVgprs: 214
; ScratchSize: 0
; MemoryBound: 0
; FloatMode: 240
; IeeeMode: 1
; LDSByteSize: 7056 bytes/workgroup (compile time only)
; SGPRBlocks: 2
; VGPRBlocks: 26
; NumSGPRsForWavesPerEU: 22
; NumVGPRsForWavesPerEU: 214
; Occupancy: 7
; WaveLimiterHint : 1
; COMPUTE_PGM_RSRC2:SCRATCH_EN: 0
; COMPUTE_PGM_RSRC2:USER_SGPR: 2
; COMPUTE_PGM_RSRC2:TRAP_HANDLER: 0
; COMPUTE_PGM_RSRC2:TGID_X_EN: 1
; COMPUTE_PGM_RSRC2:TGID_Y_EN: 0
; COMPUTE_PGM_RSRC2:TGID_Z_EN: 0
; COMPUTE_PGM_RSRC2:TIDIG_COMP_CNT: 0
	.text
	.p2alignl 7, 3214868480
	.fill 96, 4, 3214868480
	.type	__hip_cuid_e5179328700b6f4b,@object ; @__hip_cuid_e5179328700b6f4b
	.section	.bss,"aw",@nobits
	.globl	__hip_cuid_e5179328700b6f4b
__hip_cuid_e5179328700b6f4b:
	.byte	0                               ; 0x0
	.size	__hip_cuid_e5179328700b6f4b, 1

	.ident	"AMD clang version 19.0.0git (https://github.com/RadeonOpenCompute/llvm-project roc-6.4.0 25133 c7fe45cf4b819c5991fe208aaa96edf142730f1d)"
	.section	".note.GNU-stack","",@progbits
	.addrsig
	.addrsig_sym __hip_cuid_e5179328700b6f4b
	.amdgpu_metadata
---
amdhsa.kernels:
  - .args:
      - .actual_access:  read_only
        .address_space:  global
        .offset:         0
        .size:           8
        .value_kind:     global_buffer
      - .actual_access:  read_only
        .address_space:  global
        .offset:         8
        .size:           8
        .value_kind:     global_buffer
      - .actual_access:  read_only
        .address_space:  global
        .offset:         16
        .size:           8
        .value_kind:     global_buffer
      - .actual_access:  read_only
        .address_space:  global
        .offset:         24
        .size:           8
        .value_kind:     global_buffer
      - .actual_access:  read_only
        .address_space:  global
        .offset:         32
        .size:           8
        .value_kind:     global_buffer
      - .offset:         40
        .size:           8
        .value_kind:     by_value
      - .address_space:  global
        .offset:         48
        .size:           8
        .value_kind:     global_buffer
      - .address_space:  global
        .offset:         56
        .size:           8
        .value_kind:     global_buffer
      - .address_space:  global
        .offset:         64
        .size:           8
        .value_kind:     global_buffer
      - .address_space:  global
        .offset:         72
        .size:           8
        .value_kind:     global_buffer
      - .offset:         80
        .size:           4
        .value_kind:     by_value
      - .address_space:  global
        .offset:         88
        .size:           8
        .value_kind:     global_buffer
      - .address_space:  global
        .offset:         96
        .size:           8
        .value_kind:     global_buffer
    .group_segment_fixed_size: 7056
    .kernarg_segment_align: 8
    .kernarg_segment_size: 104
    .language:       OpenCL C
    .language_version:
      - 2
      - 0
    .max_flat_workgroup_size: 126
    .name:           bluestein_single_back_len1764_dim1_half_op_CI_CI
    .private_segment_fixed_size: 0
    .sgpr_count:     22
    .sgpr_spill_count: 0
    .symbol:         bluestein_single_back_len1764_dim1_half_op_CI_CI.kd
    .uniform_work_group_size: 1
    .uses_dynamic_stack: false
    .vgpr_count:     214
    .vgpr_spill_count: 0
    .wavefront_size: 32
    .workgroup_processor_mode: 1
amdhsa.target:   amdgcn-amd-amdhsa--gfx1201
amdhsa.version:
  - 1
  - 2
...

	.end_amdgpu_metadata
